;; amdgpu-corpus repo=ROCm/rocFFT kind=compiled arch=gfx1201 opt=O3
	.text
	.amdgcn_target "amdgcn-amd-amdhsa--gfx1201"
	.amdhsa_code_object_version 6
	.protected	bluestein_single_fwd_len1848_dim1_sp_op_CI_CI ; -- Begin function bluestein_single_fwd_len1848_dim1_sp_op_CI_CI
	.globl	bluestein_single_fwd_len1848_dim1_sp_op_CI_CI
	.p2align	8
	.type	bluestein_single_fwd_len1848_dim1_sp_op_CI_CI,@function
bluestein_single_fwd_len1848_dim1_sp_op_CI_CI: ; @bluestein_single_fwd_len1848_dim1_sp_op_CI_CI
; %bb.0:
	s_load_b128 s[8:11], s[0:1], 0x28
	v_mul_u32_u24_e32 v1, 0x11c, v0
	s_mov_b32 s2, exec_lo
	v_mov_b32_e32 v70, 0
	s_delay_alu instid0(VALU_DEP_2) | instskip(NEXT) | instid1(VALU_DEP_1)
	v_lshrrev_b32_e32 v1, 16, v1
	v_add_nc_u32_e32 v69, ttmp9, v1
	s_wait_kmcnt 0x0
	s_delay_alu instid0(VALU_DEP_1)
	v_cmpx_gt_u64_e64 s[8:9], v[69:70]
	s_cbranch_execz .LBB0_31
; %bb.1:
	s_clause 0x1
	s_load_b128 s[4:7], s[0:1], 0x18
	s_load_b64 s[16:17], s[0:1], 0x0
	v_mul_lo_u16 v1, 0xe7, v1
	s_movk_i32 s2, 0xfc17
	s_mov_b32 s3, -1
	s_delay_alu instid0(VALU_DEP_1) | instskip(NEXT) | instid1(VALU_DEP_1)
	v_sub_nc_u16 v18, v0, v1
	v_and_b32_e32 v107, 0xffff, v18
	s_wait_kmcnt 0x0
	s_load_b128 s[12:15], s[4:5], 0x0
	s_wait_kmcnt 0x0
	v_mad_co_u64_u32 v[0:1], null, s14, v69, 0
	v_mad_co_u64_u32 v[2:3], null, s12, v107, 0
	s_mul_u64 s[4:5], s[12:13], 0x268
	s_mul_u64 s[2:3], s[12:13], s[2:3]
	s_delay_alu instid0(SALU_CYCLE_1) | instskip(NEXT) | instid1(VALU_DEP_1)
	s_lshl_b64 s[2:3], s[2:3], 3
	v_mad_co_u64_u32 v[4:5], null, s15, v69, v[1:2]
	s_delay_alu instid0(VALU_DEP_1) | instskip(NEXT) | instid1(VALU_DEP_3)
	v_dual_mov_b32 v1, v4 :: v_dual_lshlrev_b32 v106, 3, v107
	v_mad_co_u64_u32 v[5:6], null, s13, v107, v[3:4]
	s_clause 0x4
	global_load_b64 v[82:83], v106, s[16:17]
	global_load_b64 v[76:77], v106, s[16:17] offset:9856
	global_load_b64 v[72:73], v106, s[16:17] offset:6776
	;; [unrolled: 1-line block ×4, first 2 shown]
	v_lshlrev_b64_e32 v[0:1], 3, v[0:1]
	v_add_co_u32 v70, s12, s16, v106
	s_wait_alu 0xf1ff
	v_add_co_ci_u32_e64 v71, null, s17, 0, s12
	v_mov_b32_e32 v3, v5
	s_delay_alu instid0(VALU_DEP_4) | instskip(SKIP_1) | instid1(VALU_DEP_3)
	v_add_co_u32 v0, vcc_lo, s10, v0
	v_add_co_ci_u32_e32 v1, vcc_lo, s11, v1, vcc_lo
	v_lshlrev_b64_e32 v[2:3], 3, v[2:3]
	s_lshl_b64 s[10:11], s[4:5], 3
	s_delay_alu instid0(VALU_DEP_1) | instskip(SKIP_1) | instid1(VALU_DEP_2)
	v_add_co_u32 v0, vcc_lo, v0, v2
	s_wait_alu 0xfffd
	v_add_co_ci_u32_e32 v1, vcc_lo, v1, v3, vcc_lo
	s_wait_alu 0xfffe
	s_delay_alu instid0(VALU_DEP_2) | instskip(SKIP_1) | instid1(VALU_DEP_2)
	v_add_co_u32 v2, vcc_lo, v0, s10
	s_wait_alu 0xfffd
	v_add_co_ci_u32_e32 v3, vcc_lo, s11, v1, vcc_lo
	global_load_b64 v[4:5], v[0:1], off
	v_add_co_u32 v0, vcc_lo, v2, s10
	s_wait_alu 0xfffd
	v_add_co_ci_u32_e32 v1, vcc_lo, s11, v3, vcc_lo
	s_clause 0x1
	global_load_b64 v[2:3], v[2:3], off
	global_load_b64 v[8:9], v[0:1], off
	v_add_co_u32 v6, vcc_lo, v0, s2
	s_wait_alu 0xfffd
	v_add_co_ci_u32_e32 v7, vcc_lo, s3, v1, vcc_lo
	s_delay_alu instid0(VALU_DEP_2) | instskip(SKIP_1) | instid1(VALU_DEP_2)
	v_add_co_u32 v10, vcc_lo, v6, s10
	s_wait_alu 0xfffd
	v_add_co_ci_u32_e32 v11, vcc_lo, s11, v7, vcc_lo
	global_load_b64 v[6:7], v[6:7], off
	v_add_co_u32 v0, vcc_lo, v10, s10
	s_wait_alu 0xfffd
	v_add_co_ci_u32_e32 v1, vcc_lo, s11, v11, vcc_lo
	global_load_b64 v[10:11], v[10:11], off
	global_load_b64 v[78:79], v106, s[16:17] offset:11704
	global_load_b64 v[12:13], v[0:1], off
	s_load_b64 s[8:9], s[0:1], 0x38
	s_load_b128 s[4:7], s[6:7], 0x0
	v_cmp_gt_u16_e32 vcc_lo, 0x9a, v18
	s_wait_loadcnt 0x6
	v_mul_f32_e32 v14, v5, v83
	v_mul_f32_e32 v15, v4, v83
	s_delay_alu instid0(VALU_DEP_2) | instskip(SKIP_2) | instid1(VALU_DEP_3)
	v_fmac_f32_e32 v14, v4, v82
	s_wait_loadcnt 0x5
	v_mul_f32_e32 v4, v3, v81
	v_fma_f32 v15, v5, v82, -v15
	v_mul_f32_e32 v5, v2, v81
	s_wait_loadcnt 0x4
	v_mul_f32_e32 v16, v9, v77
	v_dual_mul_f32 v17, v8, v77 :: v_dual_fmac_f32 v4, v2, v80
	s_delay_alu instid0(VALU_DEP_1)
	v_fma_f32 v17, v9, v76, -v17
	s_wait_loadcnt 0x3
	v_mul_f32_e32 v2, v7, v75
	v_fma_f32 v5, v3, v80, -v5
	v_dual_mul_f32 v3, v6, v75 :: v_dual_fmac_f32 v16, v8, v76
	s_wait_loadcnt 0x2
	v_mul_f32_e32 v9, v10, v73
	s_wait_loadcnt 0x0
	v_dual_fmac_f32 v2, v6, v74 :: v_dual_mul_f32 v19, v12, v79
	v_mul_f32_e32 v6, v11, v73
	v_mul_f32_e32 v8, v13, v79
	v_fma_f32 v3, v7, v74, -v3
	v_fma_f32 v7, v11, v72, -v9
	v_fma_f32 v9, v13, v78, -v19
	v_fmac_f32_e32 v6, v10, v72
	v_fmac_f32_e32 v8, v12, v78
	ds_store_b64 v106, v[4:5] offset:4928
	ds_store_b64 v106, v[16:17] offset:9856
	ds_store_2addr_b64 v106, v[14:15], v[2:3] offset1:231
	ds_store_b64 v106, v[6:7] offset:6776
	ds_store_b64 v106, v[8:9] offset:11704
	s_and_saveexec_b32 s12, vcc_lo
	s_cbranch_execz .LBB0_3
; %bb.2:
	v_add_co_u32 v0, s2, v0, s2
	s_wait_alu 0xf1ff
	v_add_co_ci_u32_e64 v1, s2, s3, v1, s2
	global_load_b64 v[4:5], v[70:71], off offset:3696
	global_load_b64 v[2:3], v[0:1], off
	v_add_co_u32 v0, s2, v0, s10
	s_wait_alu 0xf1ff
	v_add_co_ci_u32_e64 v1, s2, s11, v1, s2
	s_delay_alu instid0(VALU_DEP_2) | instskip(SKIP_1) | instid1(VALU_DEP_2)
	v_add_co_u32 v6, s2, v0, s10
	s_wait_alu 0xf1ff
	v_add_co_ci_u32_e64 v7, s2, s11, v1, s2
	global_load_b64 v[0:1], v[0:1], off
	s_clause 0x1
	global_load_b64 v[8:9], v[70:71], off offset:8624
	global_load_b64 v[10:11], v[70:71], off offset:13552
	global_load_b64 v[6:7], v[6:7], off
	s_wait_loadcnt 0x4
	v_mul_f32_e32 v12, v3, v5
	v_mul_f32_e32 v13, v2, v5
	s_wait_loadcnt 0x0
	v_mul_f32_e32 v5, v7, v11
	v_mul_f32_e32 v11, v6, v11
	v_fmac_f32_e32 v12, v2, v4
	v_mul_f32_e32 v2, v1, v9
	v_mul_f32_e32 v9, v0, v9
	v_fmac_f32_e32 v5, v6, v10
	v_fma_f32 v6, v7, v10, -v11
	s_delay_alu instid0(VALU_DEP_4)
	v_fmac_f32_e32 v2, v0, v8
	v_fma_f32 v13, v3, v4, -v13
	v_fma_f32 v3, v1, v8, -v9
	ds_store_b64 v106, v[12:13] offset:3696
	ds_store_b64 v106, v[2:3] offset:8624
	;; [unrolled: 1-line block ×3, first 2 shown]
.LBB0_3:
	s_wait_alu 0xfffe
	s_or_b32 exec_lo, exec_lo, s12
	v_add_nc_u32_e32 v0, 0x1300, v106
	v_add_nc_u32_e32 v1, 0x2600, v106
	global_wb scope:SCOPE_SE
	s_wait_dscnt 0x0
	s_wait_kmcnt 0x0
	s_barrier_signal -1
	s_barrier_wait -1
	global_inv scope:SCOPE_SE
	ds_load_2addr_b64 v[12:15], v106 offset1:231
	ds_load_2addr_b64 v[4:7], v0 offset0:8 offset1:239
	ds_load_2addr_b64 v[0:3], v1 offset0:16 offset1:247
                                        ; implicit-def: $vgpr18
                                        ; implicit-def: $vgpr20
                                        ; implicit-def: $vgpr16
	s_and_saveexec_b32 s2, vcc_lo
	s_cbranch_execz .LBB0_5
; %bb.4:
	ds_load_b64 v[16:17], v106 offset:3696
	ds_load_b64 v[20:21], v106 offset:8624
	;; [unrolled: 1-line block ×3, first 2 shown]
.LBB0_5:
	s_wait_alu 0xfffe
	s_or_b32 exec_lo, exec_lo, s2
	s_wait_dscnt 0x0
	v_dual_add_f32 v8, v4, v0 :: v_dual_sub_f32 v11, v5, v1
	v_dual_add_f32 v9, v12, v4 :: v_dual_add_f32 v10, v5, v1
	v_add_f32_e32 v5, v13, v5
	s_delay_alu instid0(VALU_DEP_3) | instskip(SKIP_1) | instid1(VALU_DEP_3)
	v_fma_f32 v32, -0.5, v8, v12
	s_load_b64 s[2:3], s[0:1], 0x8
	v_add_f32_e32 v8, v9, v0
	v_fma_f32 v33, -0.5, v10, v13
	v_sub_f32_e32 v0, v4, v0
	v_dual_fmamk_f32 v10, v11, 0x3f5db3d7, v32 :: v_dual_add_f32 v9, v5, v1
	v_dual_add_f32 v1, v6, v2 :: v_dual_fmac_f32 v32, 0xbf5db3d7, v11
	s_delay_alu instid0(VALU_DEP_3) | instskip(SKIP_1) | instid1(VALU_DEP_3)
	v_dual_fmamk_f32 v11, v0, 0xbf5db3d7, v33 :: v_dual_add_f32 v4, v14, v6
	v_dual_fmac_f32 v33, 0x3f5db3d7, v0 :: v_dual_add_f32 v0, v7, v3
	v_fma_f32 v14, -0.5, v1, v14
	s_delay_alu instid0(VALU_DEP_3) | instskip(SKIP_2) | instid1(VALU_DEP_3)
	v_dual_sub_f32 v1, v7, v3 :: v_dual_add_f32 v12, v4, v2
	v_add_co_u32 v88, null, 0xe7, v107
	v_add_co_u32 v22, null, 0x1ce, v107
	v_fmamk_f32 v40, v1, 0x3f5db3d7, v14
	v_dual_fmac_f32 v14, 0xbf5db3d7, v1 :: v_dual_add_f32 v1, v18, v20
	v_dual_add_f32 v4, v15, v7 :: v_dual_fmac_f32 v15, -0.5, v0
	v_sub_f32_e32 v0, v6, v2
	v_add_f32_e32 v2, v20, v16
	v_mul_u32_u24_e32 v68, 3, v107
	s_delay_alu instid0(VALU_DEP_4) | instskip(SKIP_4) | instid1(VALU_DEP_4)
	v_add_f32_e32 v13, v4, v3
	v_add_f32_e32 v3, v21, v17
	v_fmamk_f32 v41, v0, 0xbf5db3d7, v15
	v_dual_fmac_f32 v15, 0x3f5db3d7, v0 :: v_dual_add_f32 v0, v19, v21
	v_dual_fmac_f32 v16, -0.5, v1 :: v_dual_sub_f32 v1, v21, v19
	v_dual_add_f32 v37, v19, v3 :: v_dual_lshlrev_b32 v112, 3, v68
	s_delay_alu instid0(VALU_DEP_3) | instskip(SKIP_1) | instid1(VALU_DEP_4)
	v_dual_fmac_f32 v17, -0.5, v0 :: v_dual_sub_f32 v0, v20, v18
	v_add_f32_e32 v36, v18, v2
	v_fmamk_f32 v38, v1, 0x3f5db3d7, v16
	v_fmac_f32_e32 v16, 0xbf5db3d7, v1
	v_mul_u32_u24_e32 v111, 3, v22
	v_fmamk_f32 v39, v0, 0xbf5db3d7, v17
	v_fmac_f32_e32 v17, 0x3f5db3d7, v0
	v_mul_u32_u24_e32 v0, 3, v88
	global_wb scope:SCOPE_SE
	s_wait_kmcnt 0x0
	s_barrier_signal -1
	s_barrier_wait -1
	global_inv scope:SCOPE_SE
	v_lshlrev_b32_e32 v110, 3, v0
	ds_store_2addr_b64 v112, v[8:9], v[10:11] offset1:1
	ds_store_b64 v112, v[32:33] offset:16
	ds_store_2addr_b64 v110, v[12:13], v[40:41] offset1:1
	ds_store_b64 v110, v[14:15] offset:16
	s_and_saveexec_b32 s0, vcc_lo
	s_cbranch_execz .LBB0_7
; %bb.6:
	v_lshlrev_b32_e32 v0, 3, v111
	ds_store_2addr_b64 v0, v[36:37], v[38:39] offset1:1
	ds_store_b64 v0, v[16:17] offset:16
.LBB0_7:
	s_wait_alu 0xfffe
	s_or_b32 exec_lo, exec_lo, s0
	v_cmp_gt_u16_e64 s0, 0xa8, v107
	global_wb scope:SCOPE_SE
	s_wait_dscnt 0x0
	s_barrier_signal -1
	s_barrier_wait -1
	global_inv scope:SCOPE_SE
                                        ; implicit-def: $vgpr42
	s_and_saveexec_b32 s1, s0
	s_cbranch_execz .LBB0_9
; %bb.8:
	v_add_nc_u32_e32 v0, 0x1400, v106
	ds_load_2addr_b64 v[12:15], v0 offset0:32 offset1:200
	s_wait_dscnt 0x0
	v_dual_mov_b32 v40, v12 :: v_dual_add_nc_u32 v1, 0x800, v106
	ds_load_2addr_b64 v[32:35], v1 offset0:80 offset1:248
	v_add_nc_u32_e32 v0, 0x1e00, v106
	v_add_nc_u32_e32 v1, 0x2800, v106
	s_wait_dscnt 0x0
	v_dual_mov_b32 v41, v13 :: v_dual_mov_b32 v12, v34
	v_mov_b32_e32 v13, v35
	ds_load_2addr_b64 v[8:11], v106 offset1:168
	ds_load_b64 v[42:43], v106 offset:13440
	ds_load_2addr_b64 v[36:39], v0 offset0:48 offset1:216
	ds_load_2addr_b64 v[16:19], v1 offset0:64 offset1:232
.LBB0_9:
	s_wait_alu 0xfffe
	s_or_b32 exec_lo, exec_lo, s1
	v_and_b32_e32 v34, 0xff, v107
	s_delay_alu instid0(VALU_DEP_1) | instskip(NEXT) | instid1(VALU_DEP_1)
	v_mul_lo_u16 v0, 0xab, v34
	v_lshrrev_b16 v109, 9, v0
	s_delay_alu instid0(VALU_DEP_1) | instskip(SKIP_1) | instid1(VALU_DEP_2)
	v_mul_lo_u16 v0, v109, 3
	v_and_b32_e32 v109, 0xffff, v109
	v_sub_nc_u16 v0, v107, v0
	s_delay_alu instid0(VALU_DEP_1) | instskip(NEXT) | instid1(VALU_DEP_1)
	v_and_b32_e32 v108, 0xff, v0
	v_mul_u32_u24_e32 v0, 10, v108
	s_delay_alu instid0(VALU_DEP_1)
	v_lshlrev_b32_e32 v20, 3, v0
	s_clause 0x4
	global_load_b128 v[28:31], v20, s[2:3]
	global_load_b128 v[24:27], v20, s[2:3] offset:16
	global_load_b128 v[4:7], v20, s[2:3] offset:32
	;; [unrolled: 1-line block ×4, first 2 shown]
	global_wb scope:SCOPE_SE
	s_wait_loadcnt_dscnt 0x0
	s_barrier_signal -1
	s_barrier_wait -1
	global_inv scope:SCOPE_SE
	v_dual_mul_f32 v59, v32, v31 :: v_dual_mul_f32 v44, v11, v29
	v_dual_mul_f32 v47, v41, v27 :: v_dual_mul_f32 v54, v38, v1
	;; [unrolled: 1-line block ×3, first 2 shown]
	v_mul_f32_e32 v57, v40, v27
	v_mul_f32_e32 v45, v33, v31
	v_dual_mul_f32 v46, v13, v25 :: v_dual_mul_f32 v55, v36, v7
	v_dual_mul_f32 v58, v12, v25 :: v_dual_mul_f32 v49, v37, v7
	;; [unrolled: 1-line block ×4, first 2 shown]
	v_fma_f32 v63, v10, v28, -v44
	v_fma_f32 v10, v42, v22, -v65
	v_dual_mul_f32 v56, v14, v5 :: v_dual_mul_f32 v53, v16, v3
	v_dual_mul_f32 v64, v19, v21 :: v_dual_fmac_f32 v57, v41, v26
	v_fmac_f32_e32 v60, v11, v28
	v_fma_f32 v62, v32, v30, -v45
	s_delay_alu instid0(VALU_DEP_4)
	v_fmac_f32_e32 v53, v17, v2
	v_fma_f32 v61, v12, v24, -v46
	v_dual_fmac_f32 v58, v13, v24 :: v_dual_fmac_f32 v35, v43, v22
	v_fma_f32 v32, v14, v4, -v48
	v_fma_f32 v14, v36, v6, -v49
	;; [unrolled: 1-line block ×3, first 2 shown]
	v_dual_sub_f32 v67, v63, v10 :: v_dual_mul_f32 v52, v18, v21
	v_dual_fmac_f32 v55, v37, v6 :: v_dual_fmac_f32 v56, v15, v4
	v_add_f32_e32 v97, v60, v35
	v_fma_f32 v12, v18, v20, -v64
	v_add_f32_e32 v90, v61, v11
	v_dual_sub_f32 v104, v32, v14 :: v_dual_mul_f32 v87, 0xbf68dda4, v67
	v_fmac_f32_e32 v59, v33, v30
	v_fma_f32 v33, v40, v26, -v47
	v_fma_f32 v13, v38, v0, -v50
	v_dual_fmac_f32 v54, v39, v0 :: v_dual_sub_f32 v91, v60, v35
	v_dual_fmac_f32 v52, v19, v20 :: v_dual_add_f32 v117, v58, v53
	s_delay_alu instid0(VALU_DEP_3)
	v_dual_sub_f32 v89, v62, v12 :: v_dual_add_f32 v94, v33, v13
	v_fma_f32 v49, 0x3ed4b147, v97, -v87
	v_dual_mul_f32 v40, 0xbf0a6770, v67 :: v_dual_add_f32 v41, v63, v10
	v_add_f32_e32 v84, v62, v12
	v_dual_add_f32 v101, v59, v52 :: v_dual_sub_f32 v92, v61, v11
	v_dual_sub_f32 v99, v33, v13 :: v_dual_add_f32 v98, v32, v14
	v_dual_mul_f32 v66, 0xbf68dda4, v91 :: v_dual_mul_f32 v39, 0xbf68dda4, v89
	v_add_f32_e32 v49, v9, v49
	v_fma_f32 v45, 0x3f575c64, v97, -v40
	v_dual_sub_f32 v96, v59, v52 :: v_dual_add_f32 v119, v57, v54
	v_dual_sub_f32 v114, v57, v54 :: v_dual_sub_f32 v115, v56, v55
	s_delay_alu instid0(VALU_DEP_3)
	v_dual_mul_f32 v38, 0xbf0a6770, v91 :: v_dual_add_f32 v45, v9, v45
	v_dual_mul_f32 v37, 0xbf7d64f0, v92 :: v_dual_mul_f32 v116, 0xbf7d64f0, v91
	v_dual_mul_f32 v17, 0xbe903f40, v104 :: v_dual_mul_f32 v130, 0xbe903f40, v99
	v_fmamk_f32 v46, v41, 0x3ed4b147, v66
	v_fma_f32 v48, 0x3ed4b147, v101, -v39
	v_mul_f32_e32 v124, 0xbf7d64f0, v67
	v_dual_sub_f32 v100, v58, v53 :: v_dual_add_f32 v121, v56, v55
	v_dual_mul_f32 v65, 0xbf4178ce, v96 :: v_dual_mul_f32 v86, 0xbf4178ce, v89
	v_dual_mul_f32 v85, 0x3e903f40, v92 :: v_dual_mul_f32 v122, 0x3e903f40, v89
	v_dual_mul_f32 v43, 0x3f0a6770, v115 :: v_dual_add_f32 v46, v8, v46
	v_fmamk_f32 v44, v41, 0x3f575c64, v38
	v_fma_f32 v164, 0xbf75a155, v119, -v130
	v_fmamk_f32 v147, v41, 0xbe11bafb, v116
	v_dual_mul_f32 v36, 0xbf68dda4, v96 :: v_dual_add_f32 v45, v48, v45
	v_fma_f32 v149, 0xbe11bafb, v97, -v124
	v_mul_f32_e32 v18, 0xbf7d64f0, v100
	v_fma_f32 v138, 0xbf27a4f4, v101, -v86
	v_fmamk_f32 v145, v98, 0x3f575c64, v43
	v_dual_mul_f32 v15, 0xbe903f40, v115 :: v_dual_add_f32 v44, v8, v44
	v_fma_f32 v150, 0xbf75a155, v101, -v122
	v_add_f32_e32 v147, v8, v147
	v_fmamk_f32 v47, v84, 0x3ed4b147, v36
	v_mul_f32_e32 v129, 0xbf4178ce, v91
	v_dual_add_f32 v149, v9, v149 :: v_dual_mul_f32 v134, 0xbf4178ce, v67
	v_dual_mul_f32 v16, 0xbf4178ce, v114 :: v_dual_mul_f32 v19, 0xbf4178ce, v99
	v_mul_f32_e32 v105, 0x3e903f40, v96
	v_mul_f32_e32 v120, 0xbf0a6770, v99
	v_dual_mul_f32 v128, 0x3f7d64f0, v96 :: v_dual_mul_f32 v133, 0x3f7d64f0, v89
	s_delay_alu instid0(VALU_DEP_4) | instskip(SKIP_4) | instid1(VALU_DEP_4)
	v_dual_fmamk_f32 v135, v84, 0xbf27a4f4, v65 :: v_dual_fmamk_f32 v136, v94, 0xbf27a4f4, v16
	v_dual_add_f32 v44, v47, v44 :: v_dual_fmamk_f32 v157, v41, 0xbf27a4f4, v129
	v_dual_mul_f32 v64, 0x3e903f40, v100 :: v_dual_add_f32 v47, v138, v49
	v_add_f32_e32 v49, v150, v149
	v_fma_f32 v159, 0xbf27a4f4, v97, -v134
	v_add_f32_e32 v157, v8, v157
	v_dual_mul_f32 v95, 0x3f0a6770, v104 :: v_dual_add_f32 v46, v135, v46
	s_delay_alu instid0(VALU_DEP_3) | instskip(SKIP_4) | instid1(VALU_DEP_4)
	v_dual_mul_f32 v102, 0xbf0a6770, v114 :: v_dual_add_f32 v159, v9, v159
	v_dual_fmamk_f32 v141, v90, 0xbf75a155, v64 :: v_dual_fmamk_f32 v148, v84, 0xbf75a155, v105
	v_mul_f32_e32 v123, 0x3f68dda4, v92
	v_fma_f32 v142, 0xbf75a155, v117, -v85
	v_fma_f32 v160, 0xbe11bafb, v101, -v133
	v_dual_add_f32 v46, v141, v46 :: v_dual_mul_f32 v113, 0x3f68dda4, v100
	v_fma_f32 v51, 0xbe11bafb, v117, -v37
	v_mul_f32_e32 v132, 0xbf0a6770, v92
	v_fma_f32 v152, 0x3ed4b147, v117, -v123
	v_fmamk_f32 v50, v90, 0xbe11bafb, v18
	v_dual_fmamk_f32 v158, v84, 0xbe11bafb, v128 :: v_dual_add_f32 v47, v142, v47
	v_mul_f32_e32 v126, 0xbf0a6770, v100
	v_add_f32_e32 v48, v148, v147
	s_delay_alu instid0(VALU_DEP_3)
	v_dual_add_f32 v138, v160, v159 :: v_dual_add_f32 v135, v158, v157
	v_fmamk_f32 v151, v90, 0x3ed4b147, v113
	v_mul_f32_e32 v125, 0x3f68dda4, v115
	v_dual_mul_f32 v42, 0x3f7d64f0, v114 :: v_dual_mul_f32 v93, 0x3f7d64f0, v99
	v_add_f32_e32 v45, v51, v45
	v_fma_f32 v162, 0x3f575c64, v117, -v132
	s_delay_alu instid0(VALU_DEP_4) | instskip(SKIP_4) | instid1(VALU_DEP_4)
	v_dual_add_f32 v48, v151, v48 :: v_dual_fmamk_f32 v165, v98, 0x3ed4b147, v125
	v_fmamk_f32 v161, v90, 0x3f575c64, v126
	v_add_f32_e32 v49, v152, v49
	v_dual_mul_f32 v127, 0xbe903f40, v114 :: v_dual_add_f32 v44, v50, v44
	v_dual_mul_f32 v103, 0xbf4178ce, v115 :: v_dual_mul_f32 v118, 0xbf4178ce, v104
	v_dual_mul_f32 v131, 0x3f68dda4, v104 :: v_dual_add_f32 v50, v161, v135
	v_fma_f32 v137, 0xbf27a4f4, v119, -v19
	s_delay_alu instid0(VALU_DEP_4)
	v_dual_fmamk_f32 v139, v98, 0xbf75a155, v15 :: v_dual_add_f32 v44, v136, v44
	v_fma_f32 v144, 0xbe11bafb, v119, -v93
	v_fmamk_f32 v143, v94, 0xbe11bafb, v42
	v_fmamk_f32 v153, v94, 0x3f575c64, v102
	v_fma_f32 v154, 0x3f575c64, v119, -v120
	v_fmamk_f32 v163, v94, 0xbf75a155, v127
	v_add_f32_e32 v51, v162, v138
	v_fma_f32 v140, 0xbf75a155, v121, -v17
	v_fma_f32 v146, 0x3f575c64, v121, -v95
	;; [unrolled: 1-line block ×4, first 2 shown]
	v_dual_add_f32 v45, v137, v45 :: v_dual_add_f32 v136, v144, v47
	v_add_f32_e32 v135, v143, v46
	v_dual_add_f32 v46, v139, v44 :: v_dual_fmamk_f32 v155, v98, 0xbf27a4f4, v103
	v_dual_add_f32 v137, v153, v48 :: v_dual_add_f32 v138, v154, v49
	s_delay_alu instid0(VALU_DEP_3) | instskip(SKIP_2) | instid1(VALU_DEP_4)
	v_dual_add_f32 v48, v145, v135 :: v_dual_add_f32 v141, v163, v50
	v_add_f32_e32 v142, v164, v51
	v_add_f32_e32 v47, v140, v45
	v_dual_add_f32 v49, v146, v136 :: v_dual_add_f32 v50, v155, v137
	s_delay_alu instid0(VALU_DEP_4) | instskip(NEXT) | instid1(VALU_DEP_4)
	v_dual_add_f32 v51, v156, v138 :: v_dual_add_f32 v44, v165, v141
	v_add_f32_e32 v45, v166, v142
	s_and_saveexec_b32 s1, s0
	s_cbranch_execz .LBB0_11
; %bb.10:
	v_mul_f32_e32 v91, 0xbe903f40, v91
	v_dual_mul_f32 v136, 0x3f575c64, v97 :: v_dual_mul_f32 v157, 0x3f575c64, v90
	v_dual_mul_f32 v138, 0x3ed4b147, v97 :: v_dual_mul_f32 v143, 0x3ed4b147, v84
	v_dual_mul_f32 v140, 0xbe11bafb, v97 :: v_dual_mul_f32 v149, 0xbe11bafb, v84
	v_dual_mul_f32 v142, 0xbf27a4f4, v97 :: v_dual_mul_f32 v145, 0xbf27a4f4, v84
	v_dual_mul_f32 v144, 0x3ed4b147, v101 :: v_dual_mul_f32 v155, 0x3ed4b147, v90
	v_dual_mul_f32 v146, 0xbf27a4f4, v101 :: v_dual_mul_f32 v159, 0xbf27a4f4, v94
	v_dual_mul_f32 v147, 0xbf75a155, v84 :: v_dual_mul_f32 v148, 0xbf75a155, v101
	v_dual_mul_f32 v150, 0xbe11bafb, v101 :: v_dual_mul_f32 v151, 0xbe11bafb, v90
	v_dual_mul_f32 v97, 0xbf75a155, v97 :: v_dual_mul_f32 v166, 0xbf75a155, v119
	v_dual_mul_f32 v167, 0xbf75a155, v98 :: v_dual_fmamk_f32 v176, v41, 0xbf75a155, v91
	v_dual_mul_f32 v101, 0x3f575c64, v101 :: v_dual_mul_f32 v170, 0x3f575c64, v98
	v_mul_f32_e32 v96, 0x3f0a6770, v96
	s_delay_alu instid0(VALU_DEP_3) | instskip(NEXT) | instid1(VALU_DEP_3)
	v_dual_mul_f32 v171, 0x3f575c64, v121 :: v_dual_add_f32 v176, v8, v176
	v_fmamk_f32 v172, v89, 0xbf0a6770, v101
	v_fmac_f32_e32 v101, 0x3f0a6770, v89
	s_delay_alu instid0(VALU_DEP_4)
	v_fmamk_f32 v178, v84, 0x3f575c64, v96
	v_fmamk_f32 v168, v67, 0x3e903f40, v97
	v_dual_mul_f32 v152, 0xbe11bafb, v117 :: v_dual_mul_f32 v161, 0xbe11bafb, v94
	v_dual_mul_f32 v153, 0xbf75a155, v90 :: v_dual_mul_f32 v154, 0xbf75a155, v117
	v_mul_f32_e32 v156, 0x3ed4b147, v117
	v_dual_mul_f32 v158, 0x3f575c64, v117 :: v_dual_mul_f32 v163, 0x3f575c64, v94
	v_mul_f32_e32 v169, 0xbf75a155, v121
	v_mul_f32_e32 v117, 0xbf27a4f4, v117
	v_dual_mul_f32 v173, 0xbf27a4f4, v98 :: v_dual_mul_f32 v174, 0xbf27a4f4, v121
	v_mul_f32_e32 v177, 0x3ed4b147, v121
	v_fmac_f32_e32 v97, 0xbe903f40, v67
	v_fma_f32 v84, 0x3f575c64, v84, -v96
	v_dual_add_f32 v96, v134, v142 :: v_dual_mul_f32 v67, 0xbe11bafb, v121
	v_add_f32_e32 v121, v178, v176
	v_dual_mul_f32 v137, 0x3ed4b147, v41 :: v_dual_add_f32 v168, v9, v168
	v_dual_mul_f32 v135, 0x3f575c64, v41 :: v_dual_mul_f32 v164, 0x3f575c64, v119
	v_dual_mul_f32 v139, 0xbe11bafb, v41 :: v_dual_mul_f32 v162, 0xbe11bafb, v119
	;; [unrolled: 1-line block ×3, first 2 shown]
	s_delay_alu instid0(VALU_DEP_4) | instskip(SKIP_4) | instid1(VALU_DEP_4)
	v_dual_mul_f32 v165, 0xbf75a155, v94 :: v_dual_add_f32 v168, v172, v168
	v_dual_fmamk_f32 v172, v92, 0x3f4178ce, v117 :: v_dual_add_f32 v97, v9, v97
	v_mul_f32_e32 v119, 0x3ed4b147, v119
	v_mul_f32_e32 v100, 0xbf4178ce, v100
	v_fma_f32 v41, 0xbf75a155, v41, -v91
	v_dual_add_f32 v168, v172, v168 :: v_dual_add_f32 v97, v101, v97
	s_delay_alu instid0(VALU_DEP_4) | instskip(SKIP_2) | instid1(VALU_DEP_3)
	v_fmamk_f32 v172, v99, 0xbf68dda4, v119
	v_dual_add_f32 v96, v9, v96 :: v_dual_fmamk_f32 v89, v104, 0x3f7d64f0, v67
	v_fmac_f32_e32 v67, 0xbf7d64f0, v104
	v_dual_add_f32 v87, v87, v138 :: v_dual_add_f32 v168, v172, v168
	v_fmamk_f32 v172, v90, 0xbf27a4f4, v100
	v_dual_fmac_f32 v117, 0xbf4178ce, v92 :: v_dual_add_f32 v92, v8, v41
	v_mul_f32_e32 v175, 0x3ed4b147, v98
	s_delay_alu instid0(VALU_DEP_3) | instskip(SKIP_1) | instid1(VALU_DEP_4)
	v_dual_mul_f32 v114, 0x3f68dda4, v114 :: v_dual_add_f32 v91, v172, v121
	v_fma_f32 v90, 0xbf27a4f4, v90, -v100
	v_add_f32_e32 v84, v84, v92
	v_sub_f32_e32 v100, v141, v129
	v_add_f32_e32 v41, v89, v168
	v_add_f32_e32 v89, v117, v97
	;; [unrolled: 1-line block ×3, first 2 shown]
	v_fmac_f32_e32 v119, 0x3f68dda4, v99
	v_mul_f32_e32 v92, 0xbf7d64f0, v115
	v_dual_add_f32 v84, v90, v84 :: v_dual_add_f32 v87, v9, v87
	v_dual_sub_f32 v66, v137, v66 :: v_dual_add_f32 v63, v8, v63
	s_delay_alu instid0(VALU_DEP_4)
	v_add_f32_e32 v89, v119, v89
	v_fmamk_f32 v121, v94, 0x3ed4b147, v114
	v_fma_f32 v94, 0x3ed4b147, v94, -v114
	v_fmamk_f32 v99, v98, 0xbe11bafb, v92
	v_fma_f32 v92, 0xbe11bafb, v98, -v92
	v_dual_add_f32 v90, v67, v89 :: v_dual_add_f32 v89, v132, v158
	v_add_f32_e32 v98, v122, v148
	v_add_f32_e32 v67, v94, v84
	;; [unrolled: 1-line block ×4, first 2 shown]
	v_sub_f32_e32 v96, v149, v128
	v_dual_add_f32 v97, v124, v140 :: v_dual_add_f32 v100, v131, v177
	v_add_f32_e32 v40, v40, v136
	s_delay_alu instid0(VALU_DEP_4) | instskip(NEXT) | instid1(VALU_DEP_4)
	v_dual_add_f32 v84, v89, v84 :: v_dual_add_f32 v89, v130, v166
	v_add_f32_e32 v94, v96, v94
	v_sub_f32_e32 v96, v157, v126
	v_add_f32_e32 v97, v9, v97
	v_add_f32_e32 v85, v85, v154
	;; [unrolled: 1-line block ×5, first 2 shown]
	v_dual_add_f32 v84, v89, v84 :: v_dual_add_f32 v97, v98, v97
	v_sub_f32_e32 v96, v165, v127
	v_dual_add_f32 v98, v123, v156 :: v_dual_add_f32 v89, v92, v67
	s_delay_alu instid0(VALU_DEP_3) | instskip(SKIP_1) | instid1(VALU_DEP_4)
	v_add_f32_e32 v67, v100, v84
	v_sub_f32_e32 v92, v139, v116
	v_add_f32_e32 v84, v96, v94
	s_delay_alu instid0(VALU_DEP_4) | instskip(SKIP_3) | instid1(VALU_DEP_3)
	v_add_f32_e32 v94, v98, v97
	v_add_f32_e32 v100, v86, v146
	;; [unrolled: 1-line block ×3, first 2 shown]
	v_dual_add_f32 v92, v8, v92 :: v_dual_sub_f32 v65, v145, v65
	v_dual_sub_f32 v98, v147, v105 :: v_dual_add_f32 v87, v100, v87
	v_dual_sub_f32 v42, v161, v42 :: v_dual_add_f32 v39, v39, v144
	s_delay_alu instid0(VALU_DEP_4) | instskip(NEXT) | instid1(VALU_DEP_3)
	v_dual_add_f32 v9, v9, v40 :: v_dual_add_f32 v94, v96, v94
	v_dual_add_f32 v85, v85, v87 :: v_dual_add_f32 v96, v118, v174
	s_delay_alu instid0(VALU_DEP_4) | instskip(SKIP_1) | instid1(VALU_DEP_4)
	v_dual_add_f32 v92, v98, v92 :: v_dual_add_f32 v87, v93, v162
	v_dual_sub_f32 v98, v155, v113 :: v_dual_add_f32 v65, v65, v66
	v_dual_sub_f32 v64, v153, v64 :: v_dual_add_f32 v9, v39, v9
	v_add_f32_e32 v60, v60, v59
	v_dual_add_f32 v62, v63, v62 :: v_dual_sub_f32 v93, v173, v103
	v_add_f32_e32 v86, v96, v94
	v_dual_sub_f32 v94, v163, v102 :: v_dual_sub_f32 v43, v170, v43
	v_add_f32_e32 v66, v87, v85
	v_dual_add_f32 v87, v95, v171 :: v_dual_add_f32 v92, v98, v92
	v_add_f32_e32 v58, v60, v58
	v_add_f32_e32 v60, v62, v61
	v_dual_add_f32 v64, v64, v65 :: v_dual_add_f32 v19, v19, v160
	s_delay_alu instid0(VALU_DEP_4) | instskip(NEXT) | instid1(VALU_DEP_3)
	v_dual_add_f32 v59, v87, v66 :: v_dual_add_f32 v92, v94, v92
	v_dual_add_f32 v33, v60, v33 :: v_dual_sub_f32 v38, v135, v38
	v_sub_f32_e32 v36, v143, v36
	v_sub_f32_e32 v18, v151, v18
	s_delay_alu instid0(VALU_DEP_3) | instskip(NEXT) | instid1(VALU_DEP_4)
	v_dual_sub_f32 v97, v175, v125 :: v_dual_add_f32 v32, v33, v32
	v_dual_add_f32 v33, v37, v152 :: v_dual_add_f32 v8, v8, v38
	v_add_f32_e32 v91, v121, v91
	s_delay_alu instid0(VALU_DEP_3) | instskip(NEXT) | instid1(VALU_DEP_3)
	v_dual_add_f32 v85, v93, v92 :: v_dual_add_f32 v14, v32, v14
	v_dual_add_f32 v9, v33, v9 :: v_dual_add_f32 v42, v42, v64
	s_delay_alu instid0(VALU_DEP_4) | instskip(NEXT) | instid1(VALU_DEP_3)
	v_add_f32_e32 v8, v36, v8
	v_dual_add_f32 v66, v97, v84 :: v_dual_add_f32 v13, v14, v13
	s_delay_alu instid0(VALU_DEP_3) | instskip(SKIP_1) | instid1(VALU_DEP_3)
	v_add_f32_e32 v9, v19, v9
	v_sub_f32_e32 v14, v159, v16
	v_dual_add_f32 v8, v18, v8 :: v_dual_add_f32 v11, v13, v11
	s_delay_alu instid0(VALU_DEP_1) | instskip(SKIP_1) | instid1(VALU_DEP_2)
	v_dual_add_f32 v13, v17, v169 :: v_dual_add_f32 v8, v14, v8
	v_sub_f32_e32 v14, v167, v15
	v_dual_add_f32 v12, v11, v12 :: v_dual_add_f32 v9, v13, v9
	v_add_f32_e32 v40, v58, v57
	v_add_f32_e32 v58, v43, v42
	s_delay_alu instid0(VALU_DEP_4) | instskip(NEXT) | instid1(VALU_DEP_4)
	v_add_f32_e32 v8, v14, v8
	v_add_f32_e32 v10, v12, v10
	s_delay_alu instid0(VALU_DEP_4) | instskip(SKIP_1) | instid1(VALU_DEP_2)
	v_add_f32_e32 v38, v40, v56
	v_add_f32_e32 v40, v99, v91
	;; [unrolled: 1-line block ×3, first 2 shown]
	s_delay_alu instid0(VALU_DEP_1) | instskip(NEXT) | instid1(VALU_DEP_1)
	v_add_f32_e32 v32, v36, v54
	v_add_f32_e32 v16, v32, v53
	s_delay_alu instid0(VALU_DEP_1) | instskip(SKIP_1) | instid1(VALU_DEP_2)
	v_add_f32_e32 v15, v16, v52
	v_mul_u32_u24_e32 v16, 33, v109
	v_add_f32_e32 v11, v15, v35
	s_delay_alu instid0(VALU_DEP_2)
	v_add_lshl_u32 v12, v16, v108, 3
	ds_store_2addr_b64 v12, v[10:11], v[8:9] offset1:3
	ds_store_2addr_b64 v12, v[58:59], v[85:86] offset0:6 offset1:9
	ds_store_2addr_b64 v12, v[66:67], v[89:90] offset0:12 offset1:15
	;; [unrolled: 1-line block ×4, first 2 shown]
	ds_store_b64 v12, v[46:47] offset:240
.LBB0_11:
	s_wait_alu 0xfffe
	s_or_b32 exec_lo, exec_lo, s1
	global_wb scope:SCOPE_SE
	s_wait_dscnt 0x0
	s_barrier_signal -1
	s_barrier_wait -1
	global_inv scope:SCOPE_SE
	ds_load_b64 v[52:53], v106
	ds_load_b64 v[86:87], v106 offset:2112
	ds_load_b64 v[84:85], v106 offset:4224
	;; [unrolled: 1-line block ×6, first 2 shown]
	v_cmp_gt_u16_e64 s1, 33, v107
                                        ; implicit-def: $vgpr54
                                        ; implicit-def: $vgpr58
                                        ; implicit-def: $vgpr56
	s_delay_alu instid0(VALU_DEP_1)
	s_and_saveexec_b32 s10, s1
	s_cbranch_execz .LBB0_13
; %bb.12:
	ds_load_b64 v[44:45], v106 offset:1848
	ds_load_b64 v[50:51], v106 offset:3960
	;; [unrolled: 1-line block ×7, first 2 shown]
.LBB0_13:
	s_wait_alu 0xfffe
	s_or_b32 exec_lo, exec_lo, s10
	v_mul_lo_u16 v8, 0xf9, v34
	v_and_b32_e32 v9, 0xffff, v88
	s_delay_alu instid0(VALU_DEP_2) | instskip(NEXT) | instid1(VALU_DEP_2)
	v_lshrrev_b16 v89, 13, v8
	v_mul_u32_u24_e32 v9, 0xf83f, v9
	s_delay_alu instid0(VALU_DEP_2) | instskip(NEXT) | instid1(VALU_DEP_2)
	v_mul_lo_u16 v8, v89, 33
	v_lshrrev_b32_e32 v10, 21, v9
	s_delay_alu instid0(VALU_DEP_2) | instskip(NEXT) | instid1(VALU_DEP_2)
	v_sub_nc_u16 v8, v107, v8
	v_mul_lo_u16 v10, v10, 33
	s_delay_alu instid0(VALU_DEP_2) | instskip(NEXT) | instid1(VALU_DEP_2)
	v_and_b32_e32 v90, 0xff, v8
	v_sub_nc_u16 v88, v88, v10
	s_delay_alu instid0(VALU_DEP_2) | instskip(NEXT) | instid1(VALU_DEP_2)
	v_mad_co_u64_u32 v[8:9], null, v90, 48, s[2:3]
	v_mul_lo_u16 v10, v88, 48
	s_clause 0x2
	global_load_b128 v[40:43], v[8:9], off offset:240
	global_load_b128 v[36:39], v[8:9], off offset:256
	;; [unrolled: 1-line block ×3, first 2 shown]
	v_and_b32_e32 v8, 0xffff, v10
	s_wait_loadcnt_dscnt 0x204
	v_dual_mul_f32 v92, v84, v43 :: v_dual_and_b32 v89, 0xffff, v89
	v_mul_f32_e32 v91, v85, v43
	s_delay_alu instid0(VALU_DEP_3)
	v_add_co_u32 v16, s10, s2, v8
	s_wait_alu 0xf1ff
	v_add_co_ci_u32_e64 v17, null, s3, 0, s10
	v_mul_u32_u24_e32 v89, 0xe7, v89
	s_clause 0x2
	global_load_b128 v[12:15], v[16:17], off offset:240
	global_load_b128 v[8:11], v[16:17], off offset:256
	;; [unrolled: 1-line block ×3, first 2 shown]
	s_wait_loadcnt_dscnt 0x402
	v_dual_mul_f32 v93, v67, v37 :: v_dual_mul_f32 v96, v64, v39
	v_add_lshl_u32 v113, v89, v90, 3
	v_mul_f32_e32 v89, v87, v41
	v_mul_f32_e32 v90, v86, v41
	v_dual_mul_f32 v94, v66, v37 :: v_dual_mul_f32 v95, v65, v39
	s_wait_loadcnt_dscnt 0x300
	v_dual_mul_f32 v97, v63, v33 :: v_dual_mul_f32 v100, v60, v35
	v_dual_mul_f32 v98, v62, v33 :: v_dual_mul_f32 v99, v61, v35
	v_fma_f32 v86, v86, v40, -v89
	v_fmac_f32_e32 v90, v87, v40
	v_fma_f32 v84, v84, v42, -v91
	v_fmac_f32_e32 v92, v85, v42
	;; [unrolled: 2-line block ×6, first 2 shown]
	global_wb scope:SCOPE_SE
	s_wait_loadcnt 0x0
	s_barrier_signal -1
	s_barrier_wait -1
	global_inv scope:SCOPE_SE
	v_mul_f32_e32 v61, v51, v13
	v_mul_f32_e32 v85, v47, v9
	v_mul_f32_e32 v63, v50, v13
	v_mul_f32_e32 v65, v49, v15
	v_mul_f32_e32 v67, v48, v15
	v_mul_f32_e32 v87, v46, v9
	v_mul_f32_e32 v93, v55, v17
	v_mul_f32_e32 v95, v54, v17
	v_mul_f32_e32 v97, v59, v19
	v_mul_f32_e32 v99, v58, v19
	v_dual_mul_f32 v89, v57, v11 :: v_dual_add_f32 v102, v90, v100
	v_mul_f32_e32 v91, v56, v11
	v_add_f32_e32 v101, v86, v60
	v_sub_f32_e32 v60, v86, v60
	v_sub_f32_e32 v86, v90, v100
	v_add_f32_e32 v90, v84, v62
	v_add_f32_e32 v100, v92, v98
	v_sub_f32_e32 v62, v84, v62
	v_sub_f32_e32 v84, v92, v98
	v_dual_add_f32 v92, v66, v64 :: v_dual_fmac_f32 v67, v49, v14
	v_dual_add_f32 v98, v94, v96 :: v_dual_fmac_f32 v91, v57, v10
	v_dual_sub_f32 v64, v64, v66 :: v_dual_fmac_f32 v63, v51, v12
	v_dual_sub_f32 v66, v96, v94 :: v_dual_fmac_f32 v87, v47, v8
	v_fma_f32 v50, v50, v12, -v61
	v_fma_f32 v48, v48, v14, -v65
	v_fma_f32 v49, v54, v16, -v93
	v_dual_fmac_f32 v95, v55, v16 :: v_dual_add_f32 v54, v90, v101
	v_fma_f32 v51, v58, v18, -v97
	v_fmac_f32_e32 v99, v59, v18
	v_fma_f32 v46, v46, v8, -v85
	v_fma_f32 v47, v56, v10, -v89
	v_dual_sub_f32 v56, v90, v101 :: v_dual_add_f32 v55, v100, v102
	v_dual_sub_f32 v58, v101, v92 :: v_dual_sub_f32 v57, v100, v102
	v_sub_f32_e32 v59, v102, v98
	v_dual_sub_f32 v61, v92, v90 :: v_dual_add_f32 v94, v50, v51
	v_dual_sub_f32 v65, v98, v100 :: v_dual_sub_f32 v90, v64, v62
	v_dual_add_f32 v85, v64, v62 :: v_dual_add_f32 v96, v63, v99
	v_add_f32_e32 v89, v66, v84
	v_sub_f32_e32 v93, v66, v84
	v_sub_f32_e32 v66, v86, v66
	v_sub_f32_e32 v62, v62, v60
	v_sub_f32_e32 v84, v84, v86
	v_sub_f32_e32 v50, v50, v51
	v_sub_f32_e32 v51, v63, v99
	v_add_f32_e32 v63, v48, v49
	v_dual_add_f32 v97, v67, v95 :: v_dual_add_f32 v54, v92, v54
	v_sub_f32_e32 v64, v60, v64
	v_dual_sub_f32 v48, v48, v49 :: v_dual_sub_f32 v49, v67, v95
	v_dual_add_f32 v60, v85, v60 :: v_dual_add_f32 v67, v46, v47
	v_sub_f32_e32 v46, v47, v46
	v_dual_add_f32 v95, v87, v91 :: v_dual_mul_f32 v58, 0x3f4a47b2, v58
	v_sub_f32_e32 v47, v91, v87
	v_add_f32_e32 v55, v98, v55
	v_dual_add_f32 v85, v89, v86 :: v_dual_mul_f32 v92, 0x3f5ff5aa, v84
	v_dual_mul_f32 v59, 0x3f4a47b2, v59 :: v_dual_add_f32 v98, v97, v96
	v_mul_f32_e32 v86, 0x3d64c772, v61
	v_dual_mul_f32 v87, 0x3d64c772, v65 :: v_dual_sub_f32 v100, v97, v96
	v_dual_mul_f32 v89, 0xbf08b237, v90 :: v_dual_mul_f32 v90, 0xbf08b237, v93
	v_dual_mul_f32 v91, 0x3f5ff5aa, v62 :: v_dual_sub_f32 v96, v96, v95
	v_add_f32_e32 v93, v63, v94
	v_dual_sub_f32 v99, v63, v94 :: v_dual_sub_f32 v94, v94, v67
	v_sub_f32_e32 v63, v67, v63
	v_sub_f32_e32 v97, v95, v97
	v_dual_add_f32 v101, v46, v48 :: v_dual_add_f32 v102, v47, v49
	v_dual_sub_f32 v103, v46, v48 :: v_dual_sub_f32 v104, v47, v49
	v_dual_sub_f32 v105, v50, v46 :: v_dual_sub_f32 v114, v51, v47
	v_sub_f32_e32 v48, v48, v50
	v_dual_add_f32 v46, v52, v54 :: v_dual_add_f32 v47, v53, v55
	v_fmamk_f32 v52, v61, 0x3d64c772, v58
	v_sub_f32_e32 v49, v49, v51
	v_fmamk_f32 v53, v65, 0x3d64c772, v59
	v_fma_f32 v61, 0x3f3bfb3b, v56, -v86
	v_fma_f32 v65, 0x3f3bfb3b, v57, -v87
	;; [unrolled: 1-line block ×3, first 2 shown]
	v_dual_fmamk_f32 v86, v64, 0x3eae86e6, v89 :: v_dual_fmamk_f32 v87, v66, 0x3eae86e6, v90
	v_add_f32_e32 v50, v101, v50
	v_fma_f32 v58, 0x3f5ff5aa, v62, -v89
	v_fma_f32 v62, 0xbeae86e6, v64, -v91
	;; [unrolled: 1-line block ×3, first 2 shown]
	v_add_f32_e32 v66, v67, v93
	v_dual_add_f32 v67, v95, v98 :: v_dual_mul_f32 v92, 0xbf08b237, v103
	v_fma_f32 v57, 0xbf3bfb3b, v57, -v59
	v_fma_f32 v59, 0x3f5ff5aa, v84, -v90
	v_dual_add_f32 v51, v102, v51 :: v_dual_mul_f32 v84, 0x3f4a47b2, v94
	v_mul_f32_e32 v94, 0x3f5ff5aa, v48
	v_dual_mul_f32 v89, 0x3f4a47b2, v96 :: v_dual_add_f32 v44, v44, v66
	v_mul_f32_e32 v90, 0x3d64c772, v63
	v_dual_fmamk_f32 v54, v54, 0xbf955555, v46 :: v_dual_fmamk_f32 v55, v55, 0xbf955555, v47
	v_mul_f32_e32 v91, 0x3d64c772, v97
	v_mul_f32_e32 v93, 0xbf08b237, v104
	;; [unrolled: 1-line block ×3, first 2 shown]
	v_dual_fmac_f32 v62, 0x3ee1c552, v60 :: v_dual_add_f32 v45, v45, v67
	v_dual_fmac_f32 v86, 0x3ee1c552, v60 :: v_dual_fmac_f32 v87, 0x3ee1c552, v85
	v_dual_fmac_f32 v58, 0x3ee1c552, v60 :: v_dual_fmac_f32 v59, 0x3ee1c552, v85
	v_dual_fmac_f32 v64, 0x3ee1c552, v85 :: v_dual_add_f32 v61, v61, v54
	v_fma_f32 v90, 0x3f3bfb3b, v99, -v90
	v_dual_add_f32 v60, v52, v54 :: v_dual_fmamk_f32 v85, v97, 0x3d64c772, v89
	v_fma_f32 v91, 0x3f3bfb3b, v100, -v91
	v_fma_f32 v89, 0xbf3bfb3b, v100, -v89
	;; [unrolled: 1-line block ×3, first 2 shown]
	v_add_f32_e32 v94, v53, v55
	v_fmamk_f32 v98, v114, 0x3eae86e6, v93
	v_fma_f32 v93, 0x3f5ff5aa, v49, -v93
	v_dual_add_f32 v65, v65, v55 :: v_dual_fmamk_f32 v66, v66, 0xbf955555, v44
	v_add_f32_e32 v100, v57, v55
	v_fma_f32 v96, 0xbeae86e6, v114, -v95
	v_dual_add_f32 v95, v56, v54 :: v_dual_fmac_f32 v98, 0x3ee1c552, v51
	v_fmamk_f32 v63, v63, 0x3d64c772, v84
	v_fma_f32 v84, 0xbf3bfb3b, v99, -v84
	v_fmamk_f32 v99, v105, 0x3eae86e6, v92
	v_fma_f32 v92, 0x3f5ff5aa, v48, -v92
	v_dual_fmamk_f32 v67, v67, 0xbf955555, v45 :: v_dual_sub_f32 v54, v61, v59
	v_fmac_f32_e32 v93, 0x3ee1c552, v51
	s_delay_alu instid0(VALU_DEP_4) | instskip(NEXT) | instid1(VALU_DEP_4)
	v_dual_fmac_f32 v99, 0x3ee1c552, v50 :: v_dual_fmac_f32 v96, 0x3ee1c552, v51
	v_fmac_f32_e32 v92, 0x3ee1c552, v50
	v_dual_fmac_f32 v97, 0x3ee1c552, v50 :: v_dual_add_f32 v56, v59, v61
	v_dual_add_f32 v48, v87, v60 :: v_dual_sub_f32 v49, v94, v86
	v_add_f32_e32 v52, v64, v95
	v_sub_f32_e32 v53, v100, v62
	v_dual_add_f32 v55, v58, v65 :: v_dual_sub_f32 v60, v60, v87
	v_dual_sub_f32 v57, v65, v58 :: v_dual_sub_f32 v58, v95, v64
	v_dual_add_f32 v59, v62, v100 :: v_dual_add_f32 v62, v63, v66
	v_dual_add_f32 v63, v85, v67 :: v_dual_add_f32 v64, v90, v66
	;; [unrolled: 1-line block ×3, first 2 shown]
	s_delay_alu instid0(VALU_DEP_3) | instskip(NEXT) | instid1(VALU_DEP_3)
	v_dual_add_f32 v67, v91, v67 :: v_dual_add_f32 v102, v98, v62
	v_dual_add_f32 v61, v86, v94 :: v_dual_sub_f32 v100, v64, v93
	s_delay_alu instid0(VALU_DEP_3) | instskip(NEXT) | instid1(VALU_DEP_3)
	v_dual_sub_f32 v51, v66, v97 :: v_dual_and_b32 v114, 0xffff, v88
	v_dual_add_f32 v101, v92, v67 :: v_dual_sub_f32 v98, v62, v98
	v_dual_add_f32 v94, v93, v64 :: v_dual_sub_f32 v103, v63, v99
	v_add_f32_e32 v50, v96, v65
	v_sub_f32_e32 v96, v65, v96
	v_sub_f32_e32 v95, v67, v92
	v_add_f32_e32 v97, v97, v66
	v_add_f32_e32 v99, v99, v63
	ds_store_2addr_b64 v113, v[46:47], v[48:49] offset1:33
	ds_store_2addr_b64 v113, v[52:53], v[54:55] offset0:66 offset1:99
	ds_store_2addr_b64 v113, v[56:57], v[58:59] offset0:132 offset1:165
	ds_store_b64 v113, v[60:61] offset:1584
	s_and_saveexec_b32 s10, s1
	s_cbranch_execz .LBB0_15
; %bb.14:
	v_lshlrev_b32_e32 v46, 3, v114
	s_delay_alu instid0(VALU_DEP_1)
	v_add_nc_u32_e32 v47, 0x3000, v46
	ds_store_2addr_b64 v47, v[44:45], v[102:103] offset0:81 offset1:114
	ds_store_2addr_b64 v47, v[50:51], v[100:101] offset0:147 offset1:180
	;; [unrolled: 1-line block ×3, first 2 shown]
	ds_store_b64 v46, v[98:99] offset:14520
.LBB0_15:
	s_wait_alu 0xfffe
	s_or_b32 exec_lo, exec_lo, s10
	v_lshlrev_b32_e32 v48, 3, v68
	global_wb scope:SCOPE_SE
	s_wait_dscnt 0x0
	s_barrier_signal -1
	s_barrier_wait -1
	global_inv scope:SCOPE_SE
	s_clause 0x1
	global_load_b128 v[44:47], v48, s[2:3] offset:1824
	global_load_b64 v[84:85], v48, s[2:3] offset:1840
	v_add_nc_u32_e32 v68, 0xe00, v106
	v_add_nc_u32_e32 v104, 0x1c80, v106
	;; [unrolled: 1-line block ×3, first 2 shown]
	ds_load_2addr_b64 v[52:55], v68 offset0:14 offset1:245
	ds_load_2addr_b64 v[56:59], v104 offset0:12 offset1:243
	;; [unrolled: 1-line block ×3, first 2 shown]
	ds_load_2addr_b64 v[64:67], v106 offset1:231
	v_lshlrev_b32_e32 v86, 4, v107
	global_wb scope:SCOPE_SE
	s_wait_loadcnt_dscnt 0x0
	s_barrier_signal -1
	s_barrier_wait -1
	global_inv scope:SCOPE_SE
	v_mul_f32_e32 v93, v55, v45
	v_mul_f32_e32 v49, v52, v45
	v_add_co_u32 v87, s2, s2, v48
	v_mul_f32_e32 v48, v53, v45
	v_mul_f32_e32 v89, v57, v47
	v_dual_mul_f32 v90, v56, v47 :: v_dual_mul_f32 v115, v54, v45
	v_mul_f32_e32 v91, v61, v85
	v_dual_mul_f32 v92, v60, v85 :: v_dual_mul_f32 v117, v58, v47
	v_dual_mul_f32 v116, v59, v47 :: v_dual_mul_f32 v119, v62, v85
	v_dual_mul_f32 v118, v63, v85 :: v_dual_fmac_f32 v49, v53, v44
	v_fma_f32 v48, v52, v44, -v48
	v_fma_f32 v52, v56, v46, -v89
	v_dual_fmac_f32 v90, v57, v46 :: v_dual_fmac_f32 v115, v55, v44
	v_fma_f32 v53, v60, v84, -v91
	v_dual_fmac_f32 v92, v61, v84 :: v_dual_fmac_f32 v117, v59, v46
	v_fma_f32 v54, v54, v44, -v93
	v_fma_f32 v55, v58, v46, -v116
	;; [unrolled: 1-line block ×3, first 2 shown]
	v_dual_fmac_f32 v119, v63, v84 :: v_dual_sub_f32 v58, v65, v90
	s_delay_alu instid0(VALU_DEP_3) | instskip(SKIP_1) | instid1(VALU_DEP_3)
	v_dual_sub_f32 v57, v64, v52 :: v_dual_sub_f32 v60, v66, v55
	v_dual_sub_f32 v52, v48, v53 :: v_dual_sub_f32 v53, v49, v92
	;; [unrolled: 1-line block ×3, first 2 shown]
	v_sub_f32_e32 v61, v67, v117
	s_delay_alu instid0(VALU_DEP_4)
	v_fma_f32 v62, v64, 2.0, -v57
	v_fma_f32 v63, v65, 2.0, -v58
	;; [unrolled: 1-line block ×4, first 2 shown]
	v_dual_sub_f32 v48, v57, v53 :: v_dual_add_f32 v49, v58, v52
	v_fma_f32 v65, v66, 2.0, -v60
	v_fma_f32 v89, v115, 2.0, -v56
	v_sub_f32_e32 v52, v60, v56
	v_fma_f32 v66, v67, 2.0, -v61
	v_fma_f32 v67, v54, 2.0, -v55
	v_sub_f32_e32 v54, v62, v59
	v_fma_f32 v56, v57, 2.0, -v48
	v_fma_f32 v57, v58, 2.0, -v49
	s_delay_alu instid0(VALU_DEP_4)
	v_dual_sub_f32 v59, v66, v89 :: v_dual_sub_f32 v58, v65, v67
	s_wait_alu 0xf1ff
	v_add_co_ci_u32_e64 v88, null, s3, 0, s2
	v_add_f32_e32 v53, v61, v55
	v_sub_f32_e32 v55, v63, v64
	v_fma_f32 v64, v65, 2.0, -v58
	v_fma_f32 v65, v66, 2.0, -v59
	v_sub_co_u32 v66, s2, v87, v86
	v_fma_f32 v62, v62, 2.0, -v54
	v_fma_f32 v63, v63, 2.0, -v55
	s_wait_alu 0xf1ff
	v_subrev_co_ci_u32_e64 v67, s2, 0, v88, s2
	v_fma_f32 v60, v60, 2.0, -v52
	v_fma_f32 v61, v61, 2.0, -v53
	ds_store_2addr_b64 v106, v[62:63], v[56:57] offset1:231
	ds_store_2addr_b64 v68, v[54:55], v[48:49] offset0:14 offset1:245
	ds_store_2addr_b64 v104, v[64:65], v[60:61] offset0:12 offset1:243
	ds_store_2addr_b64 v105, v[58:59], v[52:53] offset0:10 offset1:241
	global_wb scope:SCOPE_SE
	s_wait_dscnt 0x0
	s_barrier_signal -1
	s_barrier_wait -1
	global_inv scope:SCOPE_SE
	s_clause 0x3
	global_load_b64 v[88:89], v[66:67], off offset:7368
	global_load_b64 v[90:91], v[66:67], off offset:9216
	;; [unrolled: 1-line block ×4, first 2 shown]
	ds_load_2addr_b64 v[52:55], v104 offset0:12 offset1:243
	ds_load_2addr_b64 v[56:59], v105 offset0:10 offset1:241
	ds_load_2addr_b64 v[60:63], v106 offset1:231
	ds_load_2addr_b64 v[64:67], v68 offset0:14 offset1:245
	v_add_nc_u32_e32 v115, 0x2400, v106
	s_add_nc_u64 s[2:3], s[16:17], 0x39c0
	s_wait_loadcnt_dscnt 0x203
	v_dual_mul_f32 v48, v53, v89 :: v_dual_mul_f32 v105, v54, v91
	s_wait_loadcnt_dscnt 0x102
	v_mul_f32_e32 v116, v57, v93
	v_dual_mul_f32 v49, v52, v89 :: v_dual_mul_f32 v104, v55, v91
	s_wait_loadcnt 0x0
	v_dual_mul_f32 v117, v56, v93 :: v_dual_mul_f32 v118, v59, v87
	s_delay_alu instid0(VALU_DEP_3)
	v_fma_f32 v56, v56, v92, -v116
	v_mul_f32_e32 v119, v58, v87
	v_fma_f32 v48, v52, v88, -v48
	v_fma_f32 v54, v54, v90, -v104
	v_fmac_f32_e32 v49, v53, v88
	v_fmac_f32_e32 v105, v55, v90
	v_fma_f32 v58, v58, v86, -v118
	v_fmac_f32_e32 v117, v57, v92
	s_wait_dscnt 0x0
	v_dual_sub_f32 v56, v64, v56 :: v_dual_fmac_f32 v119, v59, v86
	v_sub_f32_e32 v52, v60, v48
	v_dual_sub_f32 v54, v62, v54 :: v_dual_sub_f32 v53, v61, v49
	v_dual_sub_f32 v55, v63, v105 :: v_dual_sub_f32 v104, v66, v58
	v_sub_f32_e32 v57, v65, v117
	v_sub_f32_e32 v105, v67, v119
	v_fma_f32 v58, v60, 2.0, -v52
	v_fma_f32 v59, v61, 2.0, -v53
	;; [unrolled: 1-line block ×8, first 2 shown]
	ds_store_b64 v106, v[52:53] offset:7392
	ds_store_2addr_b64 v106, v[58:59], v[60:61] offset1:231
	ds_store_2addr_b64 v115, v[54:55], v[56:57] offset0:3 offset1:234
	ds_store_2addr_b64 v68, v[62:63], v[48:49] offset0:14 offset1:245
	ds_store_b64 v106, v[104:105] offset:12936
	global_wb scope:SCOPE_SE
	s_wait_dscnt 0x0
	s_barrier_signal -1
	s_barrier_wait -1
	global_inv scope:SCOPE_SE
	s_clause 0x5
	global_load_b64 v[56:57], v[70:71], off offset:14784
	global_load_b64 v[62:63], v106, s[2:3] offset:6776
	global_load_b64 v[58:59], v106, s[2:3] offset:1848
	global_load_b64 v[64:65], v106, s[2:3] offset:4928
	global_load_b64 v[66:67], v106, s[2:3] offset:9856
	global_load_b64 v[115:116], v106, s[2:3] offset:11704
	ds_load_2addr_b64 v[52:55], v106 offset1:231
	s_wait_loadcnt_dscnt 0x500
	v_mul_f32_e32 v61, v53, v57
	s_wait_loadcnt 0x3
	v_dual_mul_f32 v60, v52, v57 :: v_dual_mul_f32 v57, v55, v59
	v_mul_f32_e32 v118, v54, v59
	s_delay_alu instid0(VALU_DEP_3) | instskip(NEXT) | instid1(VALU_DEP_3)
	v_fma_f32 v59, v52, v56, -v61
	v_dual_fmac_f32 v60, v53, v56 :: v_dual_add_nc_u32 v53, 0x1300, v106
	v_add_nc_u32_e32 v52, 0x2600, v106
	v_fma_f32 v117, v54, v58, -v57
	v_fmac_f32_e32 v118, v55, v58
	ds_store_b64 v106, v[59:60]
	ds_load_2addr_b64 v[54:57], v53 offset0:8 offset1:239
	ds_load_2addr_b64 v[58:61], v52 offset0:16 offset1:247
	s_wait_dscnt 0x1
	v_mul_f32_e32 v122, v57, v63
	s_wait_loadcnt 0x2
	v_mul_f32_e32 v68, v54, v65
	v_dual_mul_f32 v120, v56, v63 :: v_dual_mul_f32 v119, v55, v65
	s_wait_loadcnt_dscnt 0x100
	v_mul_f32_e32 v121, v59, v67
	s_delay_alu instid0(VALU_DEP_3)
	v_dual_mul_f32 v65, v58, v67 :: v_dual_fmac_f32 v68, v55, v64
	s_wait_loadcnt 0x0
	v_mul_f32_e32 v123, v61, v116
	v_dual_mul_f32 v63, v60, v116 :: v_dual_fmac_f32 v120, v57, v62
	v_fma_f32 v67, v54, v64, -v119
	v_fma_f32 v119, v56, v62, -v122
	;; [unrolled: 1-line block ×3, first 2 shown]
	v_fmac_f32_e32 v65, v59, v66
	v_fma_f32 v62, v60, v115, -v123
	v_fmac_f32_e32 v63, v61, v115
	ds_store_b64 v106, v[117:118] offset:1848
	ds_store_2addr_b64 v53, v[67:68], v[119:120] offset0:8 offset1:239
	ds_store_2addr_b64 v52, v[64:65], v[62:63] offset0:16 offset1:247
	s_and_saveexec_b32 s10, vcc_lo
	s_cbranch_execz .LBB0_17
; %bb.16:
	s_wait_alu 0xfffe
	v_add_co_u32 v54, s2, s2, v106
	s_wait_alu 0xf1ff
	v_add_co_ci_u32_e64 v55, null, s3, 0, s2
	s_clause 0x2
	global_load_b64 v[56:57], v[54:55], off offset:3696
	global_load_b64 v[58:59], v[54:55], off offset:8624
	;; [unrolled: 1-line block ×3, first 2 shown]
	ds_load_b64 v[60:61], v106 offset:3696
	ds_load_b64 v[62:63], v106 offset:8624
	;; [unrolled: 1-line block ×3, first 2 shown]
	s_wait_loadcnt_dscnt 0x202
	v_mul_f32_e32 v66, v61, v57
	s_wait_loadcnt_dscnt 0x101
	v_dual_mul_f32 v67, v60, v57 :: v_dual_mul_f32 v68, v63, v59
	v_mul_f32_e32 v57, v62, v59
	s_wait_loadcnt_dscnt 0x0
	v_mul_f32_e32 v115, v65, v55
	v_mul_f32_e32 v59, v64, v55
	v_fma_f32 v66, v60, v56, -v66
	v_fmac_f32_e32 v67, v61, v56
	v_fma_f32 v56, v62, v58, -v68
	v_fmac_f32_e32 v57, v63, v58
	;; [unrolled: 2-line block ×3, first 2 shown]
	ds_store_b64 v106, v[66:67] offset:3696
	ds_store_b64 v106, v[56:57] offset:8624
	;; [unrolled: 1-line block ×3, first 2 shown]
.LBB0_17:
	s_wait_alu 0xfffe
	s_or_b32 exec_lo, exec_lo, s10
	global_wb scope:SCOPE_SE
	s_wait_dscnt 0x0
	s_barrier_signal -1
	s_barrier_wait -1
	global_inv scope:SCOPE_SE
	ds_load_2addr_b64 v[56:59], v106 offset1:231
	ds_load_2addr_b64 v[61:64], v53 offset0:8 offset1:239
	ds_load_2addr_b64 v[65:68], v52 offset0:16 offset1:247
	s_and_saveexec_b32 s2, vcc_lo
	s_cbranch_execz .LBB0_19
; %bb.18:
	ds_load_b64 v[48:49], v106 offset:3696
	ds_load_b64 v[104:105], v106 offset:8624
	;; [unrolled: 1-line block ×3, first 2 shown]
.LBB0_19:
	s_wait_alu 0xfffe
	s_or_b32 exec_lo, exec_lo, s2
	s_wait_dscnt 0x0
	v_dual_add_f32 v52, v61, v65 :: v_dual_sub_f32 v55, v62, v66
	v_dual_add_f32 v53, v56, v61 :: v_dual_add_f32 v54, v62, v66
	global_wb scope:SCOPE_SE
	v_fma_f32 v60, -0.5, v52, v56
	v_add_f32_e32 v56, v57, v62
	v_sub_f32_e32 v62, v61, v65
	v_fma_f32 v61, -0.5, v54, v57
	v_dual_add_f32 v52, v53, v65 :: v_dual_add_f32 v57, v58, v63
	v_fmamk_f32 v54, v55, 0xbf5db3d7, v60
	v_dual_fmac_f32 v60, 0x3f5db3d7, v55 :: v_dual_add_f32 v65, v64, v68
	s_delay_alu instid0(VALU_DEP_4) | instskip(SKIP_4) | instid1(VALU_DEP_4)
	v_fmamk_f32 v55, v62, 0x3f5db3d7, v61
	v_dual_add_f32 v53, v56, v66 :: v_dual_add_f32 v56, v63, v67
	v_dual_fmac_f32 v61, 0xbf5db3d7, v62 :: v_dual_sub_f32 v66, v64, v68
	v_dual_add_f32 v62, v57, v67 :: v_dual_add_f32 v57, v59, v64
	v_fmac_f32_e32 v59, -0.5, v65
	v_fma_f32 v58, -0.5, v56, v58
	v_dual_sub_f32 v64, v63, v67 :: v_dual_add_f32 v65, v102, v104
	s_delay_alu instid0(VALU_DEP_4) | instskip(NEXT) | instid1(VALU_DEP_3)
	v_add_f32_e32 v63, v57, v68
	v_dual_add_f32 v67, v105, v49 :: v_dual_fmamk_f32 v56, v66, 0xbf5db3d7, v58
	s_delay_alu instid0(VALU_DEP_3) | instskip(SKIP_3) | instid1(VALU_DEP_3)
	v_dual_fmac_f32 v58, 0x3f5db3d7, v66 :: v_dual_fmamk_f32 v57, v64, 0x3f5db3d7, v59
	v_dual_fmac_f32 v59, 0xbf5db3d7, v64 :: v_dual_add_f32 v64, v103, v105
	v_add_f32_e32 v66, v104, v48
	v_dual_fmac_f32 v48, -0.5, v65 :: v_dual_sub_f32 v65, v105, v103
	v_dual_sub_f32 v68, v104, v102 :: v_dual_fmac_f32 v49, -0.5, v64
	s_delay_alu instid0(VALU_DEP_3) | instskip(SKIP_1) | instid1(VALU_DEP_3)
	v_add_f32_e32 v64, v102, v66
	s_barrier_signal -1
	v_fmamk_f32 v66, v65, 0xbf5db3d7, v48
	v_dual_fmac_f32 v48, 0x3f5db3d7, v65 :: v_dual_add_f32 v65, v103, v67
	v_fmamk_f32 v67, v68, 0x3f5db3d7, v49
	v_fmac_f32_e32 v49, 0xbf5db3d7, v68
	s_barrier_wait -1
	global_inv scope:SCOPE_SE
	ds_store_2addr_b64 v112, v[52:53], v[54:55] offset1:1
	ds_store_b64 v112, v[60:61] offset:16
	ds_store_2addr_b64 v110, v[62:63], v[56:57] offset1:1
	ds_store_b64 v110, v[58:59] offset:16
	s_and_saveexec_b32 s2, vcc_lo
	s_cbranch_execz .LBB0_21
; %bb.20:
	v_lshlrev_b32_e32 v68, 3, v111
	ds_store_2addr_b64 v68, v[64:65], v[66:67] offset1:1
	ds_store_b64 v68, v[48:49] offset:16
.LBB0_21:
	s_wait_alu 0xfffe
	s_or_b32 exec_lo, exec_lo, s2
	global_wb scope:SCOPE_SE
	s_wait_dscnt 0x0
	s_barrier_signal -1
	s_barrier_wait -1
	global_inv scope:SCOPE_SE
	s_and_saveexec_b32 s2, s0
	s_cbranch_execz .LBB0_23
; %bb.22:
	v_add_nc_u32_e32 v48, 0x1400, v106
	v_add_nc_u32_e32 v49, 0x800, v106
	ds_load_2addr_b64 v[56:59], v48 offset0:32 offset1:200
	v_add_nc_u32_e32 v48, 0x1e00, v106
	ds_load_2addr_b64 v[60:63], v49 offset0:80 offset1:248
	v_add_nc_u32_e32 v49, 0x2800, v106
	ds_load_2addr_b64 v[52:55], v106 offset1:168
	ds_load_b64 v[100:101], v106 offset:13440
	ds_load_2addr_b64 v[64:67], v48 offset0:48 offset1:216
	ds_load_2addr_b64 v[48:51], v49 offset0:64 offset1:232
.LBB0_23:
	s_wait_alu 0xfffe
	s_or_b32 exec_lo, exec_lo, s2
	s_wait_dscnt 0x3
	v_mul_f32_e32 v68, v29, v55
	v_dual_mul_f32 v102, v29, v54 :: v_dual_mul_f32 v29, v31, v61
	v_mul_f32_e32 v31, v31, v60
	global_wb scope:SCOPE_SE
	s_wait_dscnt 0x0
	v_fmac_f32_e32 v68, v28, v54
	v_fma_f32 v102, v28, v55, -v102
	v_dual_fmac_f32 v29, v30, v60 :: v_dual_mul_f32 v28, v25, v63
	v_dual_mul_f32 v54, v25, v62 :: v_dual_mul_f32 v25, v27, v57
	v_fma_f32 v30, v30, v61, -v31
	s_delay_alu instid0(VALU_DEP_3) | instskip(NEXT) | instid1(VALU_DEP_3)
	v_dual_mul_f32 v31, v27, v56 :: v_dual_fmac_f32 v28, v24, v62
	v_fma_f32 v27, v24, v63, -v54
	s_delay_alu instid0(VALU_DEP_4) | instskip(SKIP_1) | instid1(VALU_DEP_4)
	v_dual_fmac_f32 v25, v26, v56 :: v_dual_mul_f32 v24, v5, v59
	v_mul_f32_e32 v5, v5, v58
	v_fma_f32 v31, v26, v57, -v31
	v_mul_f32_e32 v26, v7, v65
	s_delay_alu instid0(VALU_DEP_4) | instskip(SKIP_4) | instid1(VALU_DEP_4)
	v_dual_mul_f32 v7, v7, v64 :: v_dual_fmac_f32 v24, v4, v58
	v_mul_f32_e32 v57, v1, v67
	v_fma_f32 v55, v4, v59, -v5
	v_dual_mul_f32 v4, v23, v100 :: v_dual_mul_f32 v1, v1, v66
	v_dual_fmac_f32 v26, v6, v64 :: v_dual_mul_f32 v23, v23, v101
	v_dual_mul_f32 v56, v3, v49 :: v_dual_fmac_f32 v57, v0, v66
	s_delay_alu instid0(VALU_DEP_3) | instskip(NEXT) | instid1(VALU_DEP_4)
	v_fma_f32 v54, v22, v101, -v4
	v_fma_f32 v59, v0, v67, -v1
	v_mul_f32_e32 v0, v3, v48
	s_delay_alu instid0(VALU_DEP_4) | instskip(NEXT) | instid1(VALU_DEP_4)
	v_dual_fmac_f32 v56, v2, v48 :: v_dual_mul_f32 v1, v21, v50
	v_sub_f32_e32 v123, v102, v54
	v_fmac_f32_e32 v23, v22, v100
	v_add_f32_e32 v119, v54, v102
	v_fma_f32 v58, v6, v65, -v7
	s_delay_alu instid0(VALU_DEP_4) | instskip(NEXT) | instid1(VALU_DEP_4)
	v_dual_sub_f32 v149, v28, v56 :: v_dual_mul_f32 v48, 0xbf0a6770, v123
	v_add_f32_e32 v116, v23, v68
	v_sub_f32_e32 v130, v68, v23
	v_mul_f32_e32 v22, v21, v51
	v_fma_f32 v21, v2, v49, -v0
	v_mul_f32_e32 v49, 0x3f575c64, v119
	v_mul_f32_e32 v100, 0xbe11bafb, v119
	v_fma_f32 v0, 0x3f575c64, v116, -v48
	v_fmac_f32_e32 v22, v20, v50
	v_fma_f32 v20, v20, v51, -v1
	v_fmamk_f32 v1, v130, 0xbf0a6770, v49
	v_mul_f32_e32 v110, 0xbf4178ce, v123
	v_dual_add_f32 v0, v52, v0 :: v_dual_mul_f32 v63, 0x3ed4b147, v119
	s_delay_alu instid0(VALU_DEP_4) | instskip(NEXT) | instid1(VALU_DEP_4)
	v_sub_f32_e32 v131, v30, v20
	v_dual_add_f32 v1, v53, v1 :: v_dual_mul_f32 v64, 0xbf7d64f0, v123
	v_dual_fmamk_f32 v5, v130, 0xbf7d64f0, v100 :: v_dual_add_f32 v128, v20, v30
	v_dual_mul_f32 v120, 0xbf27a4f4, v119 :: v_dual_sub_f32 v139, v29, v22
	s_delay_alu instid0(VALU_DEP_3) | instskip(SKIP_1) | instid1(VALU_DEP_4)
	v_fma_f32 v4, 0xbe11bafb, v116, -v64
	v_dual_mul_f32 v60, 0xbf68dda4, v123 :: v_dual_fmamk_f32 v3, v130, 0xbf68dda4, v63
	v_mul_f32_e32 v101, 0xbf27a4f4, v128
	s_delay_alu instid0(VALU_DEP_3) | instskip(SKIP_1) | instid1(VALU_DEP_4)
	v_dual_fmamk_f32 v7, v130, 0xbf4178ce, v120 :: v_dual_add_f32 v4, v52, v4
	v_dual_add_f32 v124, v22, v29 :: v_dual_mul_f32 v51, 0x3ed4b147, v128
	v_fma_f32 v2, 0x3ed4b147, v116, -v60
	s_delay_alu instid0(VALU_DEP_3)
	v_add_f32_e32 v7, v53, v7
	v_mul_f32_e32 v103, 0x3e903f40, v131
	v_fma_f32 v6, 0xbf27a4f4, v116, -v110
	v_fmamk_f32 v62, v139, 0xbf68dda4, v51
	v_mul_f32_e32 v50, 0xbf68dda4, v131
	v_dual_mul_f32 v65, 0xbf4178ce, v131 :: v_dual_add_f32 v2, v52, v2
	v_add_f32_e32 v3, v53, v3
	s_delay_alu instid0(VALU_DEP_4) | instskip(NEXT) | instid1(VALU_DEP_4)
	v_add_f32_e32 v1, v62, v1
	v_fma_f32 v61, 0x3ed4b147, v124, -v50
	v_fma_f32 v62, 0xbf75a155, v124, -v103
	v_add_f32_e32 v6, v52, v6
	v_fma_f32 v66, 0xbf27a4f4, v124, -v65
	v_mul_f32_e32 v117, 0xbf75a155, v128
	v_dual_add_f32 v0, v61, v0 :: v_dual_fmamk_f32 v61, v139, 0xbf4178ce, v101
	v_add_f32_e32 v4, v62, v4
	v_mul_f32_e32 v126, 0xbe11bafb, v128
	v_dual_add_f32 v2, v66, v2 :: v_dual_add_f32 v5, v53, v5
	s_delay_alu instid0(VALU_DEP_4) | instskip(NEXT) | instid1(VALU_DEP_3)
	v_add_f32_e32 v3, v61, v3
	v_dual_add_f32 v133, v56, v28 :: v_dual_fmamk_f32 v62, v139, 0x3f7d64f0, v126
	v_fmamk_f32 v66, v139, 0x3e903f40, v117
	v_add_f32_e32 v136, v21, v27
	v_sub_f32_e32 v148, v31, v59
	s_barrier_signal -1
	v_add_f32_e32 v7, v62, v7
	v_dual_mul_f32 v122, 0x3f7d64f0, v131 :: v_dual_add_f32 v5, v66, v5
	v_mul_f32_e32 v62, 0xbe11bafb, v136
	v_mul_f32_e32 v115, 0xbf75a155, v136
	;; [unrolled: 1-line block ×3, first 2 shown]
	s_delay_alu instid0(VALU_DEP_4) | instskip(SKIP_4) | instid1(VALU_DEP_4)
	v_fma_f32 v61, 0xbe11bafb, v124, -v122
	v_sub_f32_e32 v143, v27, v21
	v_fmamk_f32 v67, v149, 0xbf7d64f0, v62
	v_fmamk_f32 v111, v149, 0x3e903f40, v115
	v_mul_f32_e32 v138, 0x3f575c64, v136
	v_dual_add_f32 v6, v61, v6 :: v_dual_mul_f32 v61, 0xbf7d64f0, v143
	v_mul_f32_e32 v118, 0x3f68dda4, v143
	v_dual_mul_f32 v104, 0x3e903f40, v143 :: v_dual_add_f32 v1, v67, v1
	v_fmamk_f32 v67, v149, 0x3f68dda4, v129
	s_delay_alu instid0(VALU_DEP_4) | instskip(SKIP_1) | instid1(VALU_DEP_4)
	v_fma_f32 v66, 0xbe11bafb, v133, -v61
	v_add_f32_e32 v3, v111, v3
	v_fma_f32 v105, 0xbf75a155, v133, -v104
	v_dual_mul_f32 v132, 0xbf0a6770, v143 :: v_dual_add_f32 v141, v57, v25
	s_delay_alu instid0(VALU_DEP_4) | instskip(SKIP_1) | instid1(VALU_DEP_4)
	v_add_f32_e32 v0, v66, v0
	v_fma_f32 v66, 0x3ed4b147, v133, -v118
	v_add_f32_e32 v2, v105, v2
	s_delay_alu instid0(VALU_DEP_4) | instskip(SKIP_1) | instid1(VALU_DEP_4)
	v_fma_f32 v105, 0x3f575c64, v133, -v132
	v_add_f32_e32 v5, v67, v5
	v_dual_add_f32 v145, v59, v31 :: v_dual_add_f32 v4, v66, v4
	v_mul_f32_e32 v66, 0xbf4178ce, v148
	s_delay_alu instid0(VALU_DEP_4) | instskip(NEXT) | instid1(VALU_DEP_3)
	v_add_f32_e32 v6, v105, v6
	v_dual_sub_f32 v152, v55, v58 :: v_dual_mul_f32 v125, 0xbe11bafb, v145
	v_sub_f32_e32 v154, v24, v26
	s_delay_alu instid0(VALU_DEP_4) | instskip(SKIP_3) | instid1(VALU_DEP_3)
	v_fma_f32 v112, 0xbf27a4f4, v141, -v66
	v_fmamk_f32 v111, v149, 0xbf0a6770, v138
	v_dual_add_f32 v151, v58, v55 :: v_dual_mul_f32 v144, 0xbf75a155, v145
	v_add_f32_e32 v147, v26, v24
	v_dual_add_f32 v0, v112, v0 :: v_dual_add_f32 v7, v111, v7
	v_mul_f32_e32 v134, 0x3f575c64, v145
	v_mul_f32_e32 v111, 0x3f7d64f0, v148
	;; [unrolled: 1-line block ×4, first 2 shown]
	s_barrier_wait -1
	global_inv scope:SCOPE_SE
	v_fma_f32 v112, 0xbe11bafb, v141, -v111
	v_dual_sub_f32 v153, v25, v57 :: v_dual_mul_f32 v146, 0x3f68dda4, v152
	s_delay_alu instid0(VALU_DEP_2) | instskip(NEXT) | instid1(VALU_DEP_2)
	v_dual_fmamk_f32 v161, v154, 0x3f68dda4, v150 :: v_dual_add_f32 v142, v112, v2
	v_fmamk_f32 v121, v153, 0x3f7d64f0, v125
	v_fma_f32 v2, 0xbf75a155, v141, -v140
	v_mul_f32_e32 v127, 0xbf0a6770, v148
	v_fma_f32 v160, 0x3ed4b147, v147, -v146
	v_mul_f32_e32 v112, 0xbf75a155, v151
	s_delay_alu instid0(VALU_DEP_4) | instskip(NEXT) | instid1(VALU_DEP_4)
	v_dual_add_f32 v155, v121, v3 :: v_dual_add_f32 v158, v2, v6
	v_fma_f32 v135, 0x3f575c64, v141, -v127
	v_mul_f32_e32 v67, 0xbf27a4f4, v145
	v_fmamk_f32 v3, v153, 0xbe903f40, v144
	s_delay_alu instid0(VALU_DEP_3) | instskip(NEXT) | instid1(VALU_DEP_3)
	v_dual_fmamk_f32 v137, v153, 0xbf0a6770, v134 :: v_dual_add_f32 v156, v135, v4
	v_fmamk_f32 v105, v153, 0xbf4178ce, v67
	s_delay_alu instid0(VALU_DEP_3)
	v_add_f32_e32 v159, v3, v7
	v_mul_f32_e32 v135, 0x3f575c64, v151
	v_mul_f32_e32 v121, 0x3f0a6770, v152
	v_add_f32_e32 v157, v137, v5
	v_add_f32_e32 v1, v105, v1
	v_mul_f32_e32 v105, 0xbe903f40, v152
	v_fmamk_f32 v5, v154, 0xbe903f40, v112
	v_mul_f32_e32 v137, 0xbf4178ce, v152
	s_delay_alu instid0(VALU_DEP_3) | instskip(NEXT) | instid1(VALU_DEP_3)
	v_fma_f32 v4, 0xbf75a155, v147, -v105
	v_add_f32_e32 v3, v5, v1
	s_delay_alu instid0(VALU_DEP_3) | instskip(NEXT) | instid1(VALU_DEP_3)
	v_fma_f32 v1, 0xbf27a4f4, v147, -v137
	v_add_f32_e32 v2, v4, v0
	v_fmamk_f32 v0, v154, 0x3f0a6770, v135
	v_fma_f32 v6, 0x3f575c64, v147, -v121
	s_delay_alu instid0(VALU_DEP_1) | instskip(SKIP_3) | instid1(VALU_DEP_2)
	v_dual_add_f32 v5, v0, v155 :: v_dual_add_f32 v4, v6, v142
	v_add_f32_e32 v6, v1, v156
	v_mul_f32_e32 v142, 0xbf27a4f4, v151
	v_dual_add_f32 v0, v160, v158 :: v_dual_add_f32 v1, v161, v159
	v_fmamk_f32 v7, v154, 0xbf4178ce, v142
	s_delay_alu instid0(VALU_DEP_1)
	v_add_f32_e32 v7, v7, v157
	s_and_saveexec_b32 s2, s0
	s_cbranch_execz .LBB0_25
; %bb.24:
	v_mul_f32_e32 v123, 0xbe903f40, v123
	v_dual_mul_f32 v176, 0x3f68dda4, v149 :: v_dual_mul_f32 v197, 0x3f68dda4, v154
	v_mul_f32_e32 v168, 0x3e903f40, v139
	v_mul_f32_e32 v166, 0xbf4178ce, v139
	s_delay_alu instid0(VALU_DEP_4) | instskip(SKIP_1) | instid1(VALU_DEP_4)
	v_fma_f32 v196, 0xbf75a155, v116, -v123
	v_fmac_f32_e32 v123, 0xbf75a155, v116
	v_dual_mul_f32 v160, 0xbf7d64f0, v130 :: v_dual_sub_f32 v117, v117, v168
	v_mul_f32_e32 v184, 0xbf0a6770, v153
	v_mul_f32_e32 v170, 0x3f7d64f0, v139
	s_delay_alu instid0(VALU_DEP_4) | instskip(NEXT) | instid1(VALU_DEP_4)
	v_add_f32_e32 v123, v52, v123
	v_sub_f32_e32 v100, v100, v160
	v_mul_f32_e32 v156, 0xbf0a6770, v130
	v_mul_f32_e32 v162, 0xbf4178ce, v130
	;; [unrolled: 1-line block ×3, first 2 shown]
	v_dual_mul_f32 v180, 0xbf4178ce, v153 :: v_dual_mul_f32 v143, 0xbf4178ce, v143
	v_add_f32_e32 v100, v53, v100
	v_dual_mul_f32 v186, 0xbe903f40, v153 :: v_dual_mul_f32 v189, 0xbe903f40, v154
	v_dual_mul_f32 v179, 0xbf27a4f4, v141 :: v_dual_add_f32 v196, v52, v196
	s_delay_alu instid0(VALU_DEP_3) | instskip(SKIP_3) | instid1(VALU_DEP_3)
	v_add_f32_e32 v100, v117, v100
	v_dual_sub_f32 v117, v129, v176 :: v_dual_mul_f32 v194, 0xbf4178ce, v154
	v_dual_mul_f32 v155, 0x3f575c64, v116 :: v_dual_mul_f32 v190, 0x3f575c64, v147
	v_add_f32_e32 v68, v52, v68
	v_add_f32_e32 v100, v117, v100
	v_sub_f32_e32 v117, v134, v184
	v_dual_mul_f32 v169, 0xbe11bafb, v124 :: v_dual_sub_f32 v126, v126, v170
	v_mul_f32_e32 v164, 0xbf68dda4, v139
	v_mul_f32_e32 v139, 0x3f0a6770, v139
	;; [unrolled: 1-line block ×3, first 2 shown]
	s_delay_alu instid0(VALU_DEP_4) | instskip(SKIP_1) | instid1(VALU_DEP_4)
	v_dual_mul_f32 v131, 0x3f0a6770, v131 :: v_dual_add_f32 v122, v169, v122
	v_mul_f32_e32 v148, 0x3f68dda4, v148
	v_fmamk_f32 v192, v128, 0x3f575c64, v139
	v_fma_f32 v128, 0x3f575c64, v128, -v139
	v_mul_f32_e32 v158, 0xbf68dda4, v130
	v_mul_f32_e32 v130, 0xbe903f40, v130
	;; [unrolled: 1-line block ×3, first 2 shown]
	v_fma_f32 v198, 0x3f575c64, v124, -v131
	v_fmac_f32_e32 v131, 0x3f575c64, v124
	v_mul_f32_e32 v174, 0x3e903f40, v149
	v_fmamk_f32 v188, v119, 0xbf75a155, v130
	v_fma_f32 v119, 0xbf75a155, v119, -v130
	v_mul_f32_e32 v171, 0xbe11bafb, v133
	v_dual_add_f32 v123, v131, v123 :: v_dual_mul_f32 v182, 0x3f7d64f0, v153
	s_delay_alu instid0(VALU_DEP_4) | instskip(NEXT) | instid1(VALU_DEP_4)
	v_add_f32_e32 v188, v53, v188
	v_add_f32_e32 v119, v53, v119
	v_mul_f32_e32 v173, 0xbf75a155, v133
	v_mul_f32_e32 v153, 0x3f68dda4, v153
	;; [unrolled: 1-line block ×3, first 2 shown]
	v_add_f32_e32 v188, v192, v188
	v_dual_add_f32 v119, v128, v119 :: v_dual_mul_f32 v172, 0xbf7d64f0, v149
	v_mul_f32_e32 v149, 0xbf4178ce, v149
	v_mul_f32_e32 v161, 0xbf27a4f4, v116
	v_dual_mul_f32 v130, 0xbf7d64f0, v154 :: v_dual_mul_f32 v131, 0xbf7d64f0, v152
	v_dual_mul_f32 v165, 0xbf27a4f4, v124 :: v_dual_sub_f32 v120, v120, v162
	s_delay_alu instid0(VALU_DEP_4) | instskip(SKIP_2) | instid1(VALU_DEP_3)
	v_fmamk_f32 v192, v136, 0xbf27a4f4, v149
	v_fma_f32 v128, 0xbf27a4f4, v136, -v149
	v_dual_mul_f32 v175, 0x3ed4b147, v133 :: v_dual_add_f32 v110, v161, v110
	v_dual_mul_f32 v183, 0x3f575c64, v141 :: v_dual_add_f32 v188, v192, v188
	s_delay_alu instid0(VALU_DEP_3) | instskip(SKIP_1) | instid1(VALU_DEP_4)
	v_dual_fmamk_f32 v192, v145, 0x3ed4b147, v153 :: v_dual_add_f32 v119, v128, v119
	v_fma_f32 v128, 0x3ed4b147, v145, -v153
	v_dual_mul_f32 v181, 0xbe11bafb, v141 :: v_dual_add_f32 v110, v52, v110
	s_delay_alu instid0(VALU_DEP_3)
	v_add_f32_e32 v188, v192, v188
	v_fma_f32 v192, 0xbf27a4f4, v133, -v143
	v_fmac_f32_e32 v143, 0xbf27a4f4, v133
	v_add_f32_e32 v119, v128, v119
	v_fma_f32 v128, 0xbe11bafb, v151, -v130
	v_dual_mul_f32 v191, 0x3f0a6770, v154 :: v_dual_add_f32 v154, v198, v196
	v_mul_f32_e32 v159, 0xbe11bafb, v116
	v_mul_f32_e32 v187, 0xbf75a155, v147
	;; [unrolled: 1-line block ×3, first 2 shown]
	s_delay_alu instid0(VALU_DEP_4)
	v_dual_fmamk_f32 v139, v151, 0xbe11bafb, v130 :: v_dual_add_f32 v154, v192, v154
	v_fma_f32 v192, 0x3ed4b147, v141, -v148
	v_fmac_f32_e32 v148, 0x3ed4b147, v141
	v_add_f32_e32 v130, v53, v120
	v_add_f32_e32 v110, v122, v110
	v_dual_add_f32 v122, v177, v132 :: v_dual_add_f32 v123, v143, v123
	v_mul_f32_e32 v193, 0xbf27a4f4, v147
	v_add_f32_e32 v120, v128, v119
	v_fma_f32 v133, 0xbe11bafb, v147, -v131
	s_delay_alu instid0(VALU_DEP_4)
	v_dual_fmac_f32 v131, 0xbe11bafb, v147 :: v_dual_add_f32 v122, v122, v110
	v_add_f32_e32 v119, v148, v123
	v_add_f32_e32 v123, v126, v130
	v_sub_f32_e32 v126, v138, v178
	v_sub_f32_e32 v63, v63, v158
	v_dual_add_f32 v103, v167, v103 :: v_dual_add_f32 v100, v117, v100
	v_sub_f32_e32 v101, v101, v166
	s_delay_alu instid0(VALU_DEP_4) | instskip(SKIP_3) | instid1(VALU_DEP_4)
	v_dual_add_f32 v123, v126, v123 :: v_dual_sub_f32 v126, v144, v186
	v_dual_mul_f32 v185, 0xbf75a155, v141 :: v_dual_add_f32 v116, v139, v188
	v_dual_add_f32 v63, v53, v63 :: v_dual_add_f32 v118, v175, v118
	v_add_f32_e32 v65, v165, v65
	v_add_f32_e32 v123, v126, v123
	v_sub_f32_e32 v126, v150, v197
	v_add_f32_e32 v128, v185, v140
	v_dual_add_f32 v64, v159, v64 :: v_dual_sub_f32 v117, v142, v194
	v_add_f32_e32 v63, v101, v63
	s_delay_alu instid0(VALU_DEP_4) | instskip(NEXT) | instid1(VALU_DEP_4)
	v_add_f32_e32 v110, v126, v123
	v_add_f32_e32 v122, v128, v122
	s_delay_alu instid0(VALU_DEP_4) | instskip(SKIP_3) | instid1(VALU_DEP_4)
	v_add_f32_e32 v64, v52, v64
	v_sub_f32_e32 v49, v49, v156
	v_add_f32_e32 v68, v29, v68
	v_dual_mul_f32 v163, 0x3ed4b147, v124 :: v_dual_add_f32 v124, v192, v154
	v_add_f32_e32 v103, v103, v64
	s_delay_alu instid0(VALU_DEP_4) | instskip(SKIP_2) | instid1(VALU_DEP_4)
	v_add_f32_e32 v49, v53, v49
	v_add_f32_e32 v123, v195, v146
	;; [unrolled: 1-line block ×4, first 2 shown]
	v_dual_add_f32 v103, v183, v127 :: v_dual_add_f32 v64, v117, v100
	v_add_f32_e32 v60, v157, v60
	v_dual_sub_f32 v100, v115, v174 :: v_dual_add_f32 v115, v133, v124
	s_delay_alu instid0(VALU_DEP_3) | instskip(NEXT) | instid1(VALU_DEP_3)
	v_add_f32_e32 v101, v103, v101
	v_dual_add_f32 v103, v193, v137 :: v_dual_add_f32 v60, v52, v60
	s_delay_alu instid0(VALU_DEP_3) | instskip(NEXT) | instid1(VALU_DEP_2)
	v_dual_add_f32 v63, v100, v63 :: v_dual_sub_f32 v100, v125, v182
	v_add_f32_e32 v60, v65, v60
	s_delay_alu instid0(VALU_DEP_2) | instskip(SKIP_3) | instid1(VALU_DEP_2)
	v_dual_add_f32 v65, v173, v104 :: v_dual_add_f32 v100, v100, v63
	v_sub_f32_e32 v104, v135, v191
	v_add_f32_e32 v102, v102, v53
	v_add_f32_e32 v63, v103, v101
	v_dual_add_f32 v29, v104, v100 :: v_dual_add_f32 v30, v30, v102
	s_delay_alu instid0(VALU_DEP_1) | instskip(SKIP_1) | instid1(VALU_DEP_2)
	v_dual_add_f32 v27, v27, v30 :: v_dual_add_f32 v60, v65, v60
	v_add_f32_e32 v65, v181, v111
	v_add_f32_e32 v27, v31, v27
	s_delay_alu instid0(VALU_DEP_1) | instskip(NEXT) | instid1(VALU_DEP_1)
	v_dual_add_f32 v27, v55, v27 :: v_dual_add_f32 v28, v28, v68
	v_add_f32_e32 v27, v58, v27
	s_delay_alu instid0(VALU_DEP_2) | instskip(SKIP_1) | instid1(VALU_DEP_3)
	v_dual_add_f32 v30, v190, v121 :: v_dual_add_f32 v25, v25, v28
	v_sub_f32_e32 v28, v51, v164
	v_dual_add_f32 v60, v65, v60 :: v_dual_add_f32 v27, v59, v27
	s_delay_alu instid0(VALU_DEP_3) | instskip(NEXT) | instid1(VALU_DEP_3)
	v_add_f32_e32 v24, v24, v25
	v_dual_add_f32 v25, v28, v49 :: v_dual_sub_f32 v28, v62, v172
	s_delay_alu instid0(VALU_DEP_3) | instskip(SKIP_1) | instid1(VALU_DEP_3)
	v_dual_add_f32 v48, v155, v48 :: v_dual_add_f32 v21, v21, v27
	v_sub_f32_e32 v27, v112, v189
	v_add_f32_e32 v25, v28, v25
	s_delay_alu instid0(VALU_DEP_3) | instskip(SKIP_2) | instid1(VALU_DEP_3)
	v_dual_add_f32 v31, v52, v48 :: v_dual_add_f32 v48, v163, v50
	v_sub_f32_e32 v28, v67, v180
	v_add_f32_e32 v24, v26, v24
	v_dual_add_f32 v26, v171, v61 :: v_dual_add_f32 v31, v48, v31
	s_delay_alu instid0(VALU_DEP_2) | instskip(SKIP_2) | instid1(VALU_DEP_4)
	v_dual_add_f32 v25, v28, v25 :: v_dual_add_f32 v24, v57, v24
	v_add_f32_e32 v28, v187, v105
	v_mul_u32_u24_e32 v48, 33, v109
	v_dual_add_f32 v26, v26, v31 :: v_dual_add_f32 v31, v179, v66
	v_add_f32_e32 v109, v123, v122
	s_delay_alu instid0(VALU_DEP_2) | instskip(SKIP_1) | instid1(VALU_DEP_2)
	v_dual_add_f32 v26, v31, v26 :: v_dual_add_f32 v31, v20, v21
	v_dual_add_f32 v24, v56, v24 :: v_dual_add_f32 v21, v27, v25
	v_add_f32_e32 v20, v28, v26
	v_add_f32_e32 v28, v30, v60
	s_delay_alu instid0(VALU_DEP_3) | instskip(NEXT) | instid1(VALU_DEP_1)
	v_add_f32_e32 v22, v22, v24
	v_dual_add_f32 v24, v54, v31 :: v_dual_add_f32 v23, v23, v22
	v_add_lshl_u32 v22, v48, v108, 3
	ds_store_2addr_b64 v22, v[23:24], v[20:21] offset1:3
	ds_store_2addr_b64 v22, v[28:29], v[63:64] offset0:6 offset1:9
	ds_store_2addr_b64 v22, v[109:110], v[119:120] offset0:12 offset1:15
	;; [unrolled: 1-line block ×4, first 2 shown]
	ds_store_b64 v22, v[2:3] offset:240
.LBB0_25:
	s_wait_alu 0xfffe
	s_or_b32 exec_lo, exec_lo, s2
	global_wb scope:SCOPE_SE
	s_wait_dscnt 0x0
	s_barrier_signal -1
	s_barrier_wait -1
	global_inv scope:SCOPE_SE
	ds_load_b64 v[20:21], v106
	ds_load_b64 v[48:49], v106 offset:2112
	ds_load_b64 v[30:31], v106 offset:4224
	ds_load_b64 v[28:29], v106 offset:6336
	ds_load_b64 v[24:25], v106 offset:8448
	ds_load_b64 v[22:23], v106 offset:10560
	ds_load_b64 v[26:27], v106 offset:12672
	s_and_saveexec_b32 s0, s1
	s_cbranch_execz .LBB0_27
; %bb.26:
	ds_load_b64 v[0:1], v106 offset:1848
	ds_load_b64 v[6:7], v106 offset:3960
	;; [unrolled: 1-line block ×7, first 2 shown]
.LBB0_27:
	s_wait_alu 0xfffe
	s_or_b32 exec_lo, exec_lo, s0
	s_wait_dscnt 0x4
	v_dual_mul_f32 v50, v41, v49 :: v_dual_mul_f32 v51, v43, v31
	v_mul_f32_e32 v41, v41, v48
	v_mul_f32_e32 v43, v43, v30
	global_wb scope:SCOPE_SE
	s_wait_dscnt 0x0
	v_fmac_f32_e32 v50, v40, v48
	v_mul_f32_e32 v48, v39, v25
	v_fma_f32 v40, v40, v49, -v41
	v_mul_f32_e32 v41, v37, v29
	v_mul_f32_e32 v37, v37, v28
	v_fmac_f32_e32 v51, v42, v30
	v_fma_f32 v30, v42, v31, -v43
	v_fmac_f32_e32 v48, v38, v24
	v_mul_f32_e32 v24, v39, v24
	v_fmac_f32_e32 v41, v36, v28
	v_fma_f32 v28, v36, v29, -v37
	v_mul_f32_e32 v29, v35, v27
	v_mul_f32_e32 v31, v35, v26
	;; [unrolled: 1-line block ×3, first 2 shown]
	v_fma_f32 v24, v38, v25, -v24
	v_mul_f32_e32 v33, v33, v22
	s_barrier_signal -1
	s_barrier_wait -1
	v_fmac_f32_e32 v35, v32, v22
	global_inv scope:SCOPE_SE
	v_fma_f32 v22, v32, v23, -v33
	v_dual_sub_f32 v32, v51, v35 :: v_dual_fmac_f32 v29, v34, v26
	v_fma_f32 v26, v34, v27, -v31
	s_delay_alu instid0(VALU_DEP_3) | instskip(SKIP_2) | instid1(VALU_DEP_4)
	v_add_f32_e32 v31, v30, v22
	v_sub_f32_e32 v22, v30, v22
	v_sub_f32_e32 v34, v48, v41
	v_dual_add_f32 v30, v41, v48 :: v_dual_add_f32 v25, v40, v26
	v_sub_f32_e32 v26, v40, v26
	v_add_f32_e32 v33, v28, v24
	v_sub_f32_e32 v24, v24, v28
	v_add_f32_e32 v38, v34, v32
	s_delay_alu instid0(VALU_DEP_2) | instskip(SKIP_4) | instid1(VALU_DEP_4)
	v_dual_sub_f32 v40, v34, v32 :: v_dual_sub_f32 v41, v24, v22
	v_add_f32_e32 v39, v24, v22
	v_sub_f32_e32 v22, v22, v26
	v_sub_f32_e32 v27, v50, v29
	;; [unrolled: 1-line block ×3, first 2 shown]
	v_dual_add_f32 v26, v39, v26 :: v_dual_mul_f32 v39, 0x3f08b237, v41
	s_delay_alu instid0(VALU_DEP_3) | instskip(SKIP_2) | instid1(VALU_DEP_1)
	v_dual_sub_f32 v32, v32, v27 :: v_dual_add_f32 v23, v50, v29
	v_sub_f32_e32 v34, v27, v34
	v_add_f32_e32 v29, v51, v35
	v_add_f32_e32 v28, v29, v23
	v_dual_sub_f32 v36, v29, v23 :: v_dual_sub_f32 v23, v23, v30
	s_delay_alu instid0(VALU_DEP_1) | instskip(NEXT) | instid1(VALU_DEP_1)
	v_dual_add_f32 v28, v30, v28 :: v_dual_mul_f32 v23, 0x3f4a47b2, v23
	v_dual_add_f32 v20, v20, v28 :: v_dual_add_f32 v35, v31, v25
	v_sub_f32_e32 v29, v30, v29
	v_sub_f32_e32 v37, v31, v25
	s_delay_alu instid0(VALU_DEP_3) | instskip(NEXT) | instid1(VALU_DEP_4)
	v_dual_sub_f32 v25, v25, v33 :: v_dual_fmamk_f32 v28, v28, 0xbf955555, v20
	v_add_f32_e32 v30, v33, v35
	s_delay_alu instid0(VALU_DEP_1)
	v_add_f32_e32 v21, v21, v30
	v_sub_f32_e32 v31, v33, v31
	v_mul_f32_e32 v33, 0x3d64c772, v29
	v_fmamk_f32 v29, v29, 0x3d64c772, v23
	v_dual_add_f32 v27, v38, v27 :: v_dual_mul_f32 v38, 0x3f08b237, v40
	v_mul_f32_e32 v40, 0xbf5ff5aa, v32
	s_delay_alu instid0(VALU_DEP_4) | instskip(SKIP_1) | instid1(VALU_DEP_4)
	v_fma_f32 v33, 0x3f3bfb3b, v36, -v33
	v_fma_f32 v23, 0xbf3bfb3b, v36, -v23
	v_fmamk_f32 v36, v34, 0xbeae86e6, v38
	v_fma_f32 v32, 0xbf5ff5aa, v32, -v38
	v_fma_f32 v38, 0xbf5ff5aa, v22, -v39
	v_fmamk_f32 v30, v30, 0xbf955555, v21
	v_fma_f32 v34, 0x3eae86e6, v34, -v40
	v_add_f32_e32 v40, v29, v28
	v_dual_add_f32 v29, v33, v28 :: v_dual_fmac_f32 v32, 0xbee1c552, v27
	v_dual_add_f32 v33, v23, v28 :: v_dual_fmac_f32 v38, 0xbee1c552, v26
	v_mul_f32_e32 v25, 0x3f4a47b2, v25
	v_mul_f32_e32 v35, 0x3d64c772, v31
	;; [unrolled: 1-line block ×3, first 2 shown]
	v_fmac_f32_e32 v36, 0xbee1c552, v27
	s_delay_alu instid0(VALU_DEP_4) | instskip(NEXT) | instid1(VALU_DEP_4)
	v_dual_add_f32 v28, v38, v29 :: v_dual_fmamk_f32 v31, v31, 0x3d64c772, v25
	v_fma_f32 v35, 0x3f3bfb3b, v37, -v35
	v_fma_f32 v25, 0xbf3bfb3b, v37, -v25
	v_fmamk_f32 v37, v24, 0xbeae86e6, v39
	v_fma_f32 v39, 0x3eae86e6, v24, -v41
	v_add_f32_e32 v41, v31, v30
	v_dual_add_f32 v31, v35, v30 :: v_dual_fmac_f32 v34, 0xbee1c552, v27
	s_delay_alu instid0(VALU_DEP_4) | instskip(SKIP_4) | instid1(VALU_DEP_4)
	v_fmac_f32_e32 v37, 0xbee1c552, v26
	v_add_f32_e32 v35, v25, v30
	v_fmac_f32_e32 v39, 0xbee1c552, v26
	v_sub_f32_e32 v23, v41, v36
	v_sub_f32_e32 v26, v29, v38
	v_dual_add_f32 v22, v37, v40 :: v_dual_sub_f32 v25, v35, v34
	s_delay_alu instid0(VALU_DEP_4)
	v_dual_add_f32 v24, v39, v33 :: v_dual_add_f32 v27, v32, v31
	v_dual_sub_f32 v29, v31, v32 :: v_dual_sub_f32 v30, v33, v39
	v_dual_add_f32 v31, v34, v35 :: v_dual_sub_f32 v32, v40, v37
	v_add_f32_e32 v33, v36, v41
	ds_store_2addr_b64 v113, v[20:21], v[22:23] offset1:33
	ds_store_2addr_b64 v113, v[24:25], v[26:27] offset0:66 offset1:99
	ds_store_2addr_b64 v113, v[28:29], v[30:31] offset0:132 offset1:165
	ds_store_b64 v113, v[32:33] offset:1584
	s_and_saveexec_b32 s0, s1
	s_cbranch_execz .LBB0_29
; %bb.28:
	v_dual_mul_f32 v20, v13, v7 :: v_dual_mul_f32 v23, v15, v5
	v_dual_mul_f32 v21, v11, v95 :: v_dual_mul_f32 v24, v17, v97
	v_mul_f32_e32 v22, v9, v3
	s_delay_alu instid0(VALU_DEP_3) | instskip(NEXT) | instid1(VALU_DEP_3)
	v_dual_fmac_f32 v20, v12, v6 :: v_dual_fmac_f32 v23, v14, v4
	v_fmac_f32_e32 v21, v10, v94
	s_delay_alu instid0(VALU_DEP_3) | instskip(SKIP_3) | instid1(VALU_DEP_4)
	v_dual_mul_f32 v25, v19, v99 :: v_dual_fmac_f32 v22, v8, v2
	v_fmac_f32_e32 v24, v16, v96
	v_mul_f32_e32 v2, v9, v2
	v_mul_f32_e32 v6, v13, v6
	v_fmac_f32_e32 v25, v18, v98
	s_delay_alu instid0(VALU_DEP_4) | instskip(SKIP_2) | instid1(VALU_DEP_4)
	v_dual_sub_f32 v26, v21, v22 :: v_dual_sub_f32 v27, v23, v24
	v_mul_f32_e32 v19, v19, v98
	v_mul_f32_e32 v4, v15, v4
	v_sub_f32_e32 v28, v20, v25
	v_fma_f32 v2, v8, v3, -v2
	v_sub_f32_e32 v29, v26, v27
	v_fma_f32 v13, v18, v99, -v19
	v_fma_f32 v6, v12, v7, -v6
	v_sub_f32_e32 v18, v28, v26
	v_mul_f32_e32 v7, v11, v94
	v_mul_f32_e32 v19, 0x3f08b237, v29
	;; [unrolled: 1-line block ×3, first 2 shown]
	v_fma_f32 v4, v14, v5, -v4
	v_add_f32_e32 v5, v26, v27
	v_fma_f32 v3, v10, v95, -v7
	v_fmamk_f32 v10, v18, 0xbeae86e6, v19
	v_fma_f32 v9, v16, v97, -v17
	v_dual_add_f32 v16, v24, v23 :: v_dual_add_f32 v17, v22, v21
	s_delay_alu instid0(VALU_DEP_4) | instskip(NEXT) | instid1(VALU_DEP_3)
	v_add_f32_e32 v8, v2, v3
	v_dual_sub_f32 v2, v3, v2 :: v_dual_add_f32 v7, v9, v4
	v_add_f32_e32 v5, v5, v28
	v_add_f32_e32 v11, v13, v6
	v_dual_add_f32 v15, v25, v20 :: v_dual_sub_f32 v6, v6, v13
	s_delay_alu instid0(VALU_DEP_3) | instskip(NEXT) | instid1(VALU_DEP_3)
	v_fmac_f32_e32 v10, 0xbee1c552, v5
	v_add_f32_e32 v12, v7, v11
	v_sub_f32_e32 v4, v4, v9
	s_delay_alu instid0(VALU_DEP_1) | instskip(NEXT) | instid1(VALU_DEP_1)
	v_dual_sub_f32 v22, v15, v17 :: v_dual_sub_f32 v3, v2, v4
	v_dual_sub_f32 v14, v11, v8 :: v_dual_mul_f32 v9, 0x3f4a47b2, v22
	s_delay_alu instid0(VALU_DEP_4) | instskip(SKIP_1) | instid1(VALU_DEP_4)
	v_add_f32_e32 v12, v8, v12
	v_sub_f32_e32 v8, v8, v7
	v_mul_f32_e32 v23, 0x3f08b237, v3
	s_delay_alu instid0(VALU_DEP_4) | instskip(NEXT) | instid1(VALU_DEP_4)
	v_mul_f32_e32 v14, 0x3f4a47b2, v14
	v_dual_add_f32 v20, v16, v15 :: v_dual_add_f32 v1, v1, v12
	s_delay_alu instid0(VALU_DEP_4) | instskip(NEXT) | instid1(VALU_DEP_3)
	v_mul_f32_e32 v21, 0x3d64c772, v8
	v_dual_sub_f32 v7, v7, v11 :: v_dual_fmamk_f32 v8, v8, 0x3d64c772, v14
	s_delay_alu instid0(VALU_DEP_3) | instskip(NEXT) | instid1(VALU_DEP_4)
	v_add_f32_e32 v20, v17, v20
	v_dual_fmamk_f32 v12, v12, 0xbf955555, v1 :: v_dual_sub_f32 v17, v17, v16
	v_sub_f32_e32 v11, v16, v15
	s_delay_alu instid0(VALU_DEP_4) | instskip(SKIP_1) | instid1(VALU_DEP_4)
	v_fma_f32 v14, 0xbf3bfb3b, v7, -v14
	v_fma_f32 v7, 0x3f3bfb3b, v7, -v21
	v_dual_add_f32 v13, v8, v12 :: v_dual_sub_f32 v22, v6, v2
	v_add_f32_e32 v2, v2, v4
	v_dual_fmamk_f32 v8, v17, 0x3d64c772, v9 :: v_dual_mul_f32 v17, 0x3d64c772, v17
	s_delay_alu instid0(VALU_DEP_3) | instskip(SKIP_1) | instid1(VALU_DEP_4)
	v_add_f32_e32 v3, v10, v13
	v_fma_f32 v9, 0xbf3bfb3b, v11, -v9
	v_add_f32_e32 v2, v2, v6
	v_add_f32_e32 v0, v0, v20
	;; [unrolled: 1-line block ×3, first 2 shown]
	v_dual_sub_f32 v24, v27, v28 :: v_dual_sub_f32 v13, v13, v10
	s_delay_alu instid0(VALU_DEP_3) | instskip(NEXT) | instid1(VALU_DEP_1)
	v_fmamk_f32 v20, v20, 0xbf955555, v0
	v_add_f32_e32 v16, v9, v20
	v_add_f32_e32 v9, v7, v12
	;; [unrolled: 1-line block ×3, first 2 shown]
	v_mul_f32_e32 v8, 0xbf5ff5aa, v24
	v_sub_f32_e32 v4, v4, v6
	s_delay_alu instid0(VALU_DEP_2) | instskip(NEXT) | instid1(VALU_DEP_2)
	v_fma_f32 v6, 0x3eae86e6, v18, -v8
	v_mul_f32_e32 v8, 0xbf5ff5aa, v4
	v_fma_f32 v18, 0xbf5ff5aa, v4, -v23
	v_fma_f32 v4, 0x3f3bfb3b, v11, -v17
	s_delay_alu instid0(VALU_DEP_4) | instskip(NEXT) | instid1(VALU_DEP_4)
	v_dual_fmac_f32 v6, 0xbee1c552, v5 :: v_dual_lshlrev_b32 v17, 3, v114
	v_fma_f32 v15, 0x3eae86e6, v22, -v8
	v_fma_f32 v8, 0xbf5ff5aa, v24, -v19
	v_fmac_f32_e32 v18, 0xbee1c552, v2
	s_delay_alu instid0(VALU_DEP_4) | instskip(NEXT) | instid1(VALU_DEP_3)
	v_sub_f32_e32 v11, v14, v6
	v_dual_fmac_f32 v15, 0xbee1c552, v2 :: v_dual_fmac_f32 v8, 0xbee1c552, v5
	v_dual_add_f32 v5, v6, v14 :: v_dual_add_nc_u32 v14, 0x3000, v17
	s_delay_alu instid0(VALU_DEP_2) | instskip(NEXT) | instid1(VALU_DEP_3)
	v_add_f32_e32 v10, v15, v16
	v_dual_sub_f32 v7, v9, v8 :: v_dual_fmamk_f32 v26, v22, 0xbeae86e6, v23
	s_delay_alu instid0(VALU_DEP_1) | instskip(SKIP_2) | instid1(VALU_DEP_3)
	v_dual_add_f32 v9, v8, v9 :: v_dual_fmac_f32 v26, 0xbee1c552, v2
	v_add_f32_e32 v2, v4, v20
	v_sub_f32_e32 v4, v16, v15
	v_add_f32_e32 v12, v26, v25
	s_delay_alu instid0(VALU_DEP_3)
	v_sub_f32_e32 v8, v2, v18
	v_add_f32_e32 v6, v18, v2
	v_sub_f32_e32 v2, v25, v26
	ds_store_2addr_b64 v14, v[0:1], v[12:13] offset0:81 offset1:114
	ds_store_2addr_b64 v14, v[10:11], v[8:9] offset0:147 offset1:180
	;; [unrolled: 1-line block ×3, first 2 shown]
	ds_store_b64 v17, v[2:3] offset:14520
.LBB0_29:
	s_wait_alu 0xfffe
	s_or_b32 exec_lo, exec_lo, s0
	v_add_nc_u32_e32 v16, 0xe00, v106
	v_add_nc_u32_e32 v17, 0x1c80, v106
	;; [unrolled: 1-line block ×3, first 2 shown]
	global_wb scope:SCOPE_SE
	s_wait_dscnt 0x0
	s_barrier_signal -1
	s_barrier_wait -1
	global_inv scope:SCOPE_SE
	ds_load_2addr_b64 v[0:3], v16 offset0:14 offset1:245
	ds_load_2addr_b64 v[4:7], v17 offset0:12 offset1:243
	;; [unrolled: 1-line block ×3, first 2 shown]
	ds_load_2addr_b64 v[12:15], v106 offset1:231
	global_wb scope:SCOPE_SE
	s_wait_dscnt 0x0
	s_barrier_signal -1
	s_barrier_wait -1
	global_inv scope:SCOPE_SE
	s_mov_b32 s2, 0x4046ed29
	s_mov_b32 s3, 0x3f41bb4a
	v_mul_f32_e32 v19, v45, v1
	v_dual_mul_f32 v21, v47, v5 :: v_dual_mul_f32 v20, v45, v0
	v_dual_mul_f32 v22, v47, v4 :: v_dual_mul_f32 v23, v85, v9
	;; [unrolled: 1-line block ×3, first 2 shown]
	s_delay_alu instid0(VALU_DEP_4) | instskip(NEXT) | instid1(VALU_DEP_4)
	v_dual_mul_f32 v26, v45, v2 :: v_dual_fmac_f32 v19, v44, v0
	v_dual_mul_f32 v30, v85, v10 :: v_dual_fmac_f32 v21, v46, v4
	v_fma_f32 v0, v44, v1, -v20
	v_fma_f32 v1, v46, v5, -v22
	v_fmac_f32_e32 v23, v84, v8
	v_dual_mul_f32 v24, v85, v8 :: v_dual_mul_f32 v27, v47, v7
	v_fma_f32 v3, v44, v3, -v26
	v_fma_f32 v5, v84, v11, -v30
	v_fmac_f32_e32 v25, v44, v2
	v_fma_f32 v2, v46, v7, -v28
	v_dual_sub_f32 v20, v13, v1 :: v_dual_sub_f32 v7, v19, v23
	v_mul_f32_e32 v29, v85, v11
	v_fma_f32 v4, v84, v9, -v24
	s_delay_alu instid0(VALU_DEP_3) | instskip(NEXT) | instid1(VALU_DEP_4)
	v_fma_f32 v9, v13, 2.0, -v20
	v_fma_f32 v8, v19, 2.0, -v7
	v_dual_fmac_f32 v27, v46, v6 :: v_dual_sub_f32 v6, v12, v21
	s_delay_alu instid0(VALU_DEP_4) | instskip(SKIP_2) | instid1(VALU_DEP_4)
	v_sub_f32_e32 v1, v0, v4
	v_fmac_f32_e32 v29, v84, v10
	v_sub_f32_e32 v21, v15, v2
	v_fma_f32 v4, v12, 2.0, -v6
	s_delay_alu instid0(VALU_DEP_4) | instskip(SKIP_2) | instid1(VALU_DEP_4)
	v_fma_f32 v10, v0, 2.0, -v1
	v_sub_f32_e32 v12, v3, v5
	v_add_f32_e32 v2, v6, v1
	v_dual_sub_f32 v0, v4, v8 :: v_dual_sub_f32 v19, v14, v27
	v_sub_f32_e32 v11, v25, v29
	v_sub_f32_e32 v1, v9, v10
	v_fma_f32 v10, v3, 2.0, -v12
	s_delay_alu instid0(VALU_DEP_4)
	v_fma_f32 v4, v4, 2.0, -v0
	v_fma_f32 v13, v14, 2.0, -v19
	;; [unrolled: 1-line block ×5, first 2 shown]
	v_mad_co_u64_u32 v[26:27], null, s4, v107, 0
	s_delay_alu instid0(VALU_DEP_4) | instskip(SKIP_3) | instid1(VALU_DEP_3)
	v_dual_sub_f32 v9, v14, v10 :: v_dual_add_f32 v10, v19, v12
	v_fma_f32 v8, v25, 2.0, -v11
	v_sub_f32_e32 v11, v21, v11
	v_mad_co_u64_u32 v[24:25], null, s6, v69, 0
	v_dual_sub_f32 v8, v13, v8 :: v_dual_sub_f32 v3, v20, v7
	s_delay_alu instid0(VALU_DEP_3) | instskip(NEXT) | instid1(VALU_DEP_2)
	v_fma_f32 v15, v21, 2.0, -v11
	v_fma_f32 v12, v13, 2.0, -v8
	s_delay_alu instid0(VALU_DEP_3)
	v_fma_f32 v7, v20, 2.0, -v3
	v_fma_f32 v13, v14, 2.0, -v9
	;; [unrolled: 1-line block ×3, first 2 shown]
	ds_store_2addr_b64 v106, v[4:5], v[6:7] offset1:231
	ds_store_2addr_b64 v16, v[0:1], v[2:3] offset0:14 offset1:245
	ds_store_2addr_b64 v17, v[12:13], v[14:15] offset0:12 offset1:243
	;; [unrolled: 1-line block ×3, first 2 shown]
	global_wb scope:SCOPE_SE
	s_wait_dscnt 0x0
	s_barrier_signal -1
	s_barrier_wait -1
	global_inv scope:SCOPE_SE
	ds_load_2addr_b64 v[0:3], v17 offset0:12 offset1:243
	ds_load_2addr_b64 v[4:7], v18 offset0:10 offset1:241
	ds_load_2addr_b64 v[8:11], v106 offset1:231
	ds_load_2addr_b64 v[12:15], v16 offset0:14 offset1:245
	v_mad_co_u64_u32 v[28:29], null, s7, v69, v[25:26]
	s_mul_u64 s[6:7], s[4:5], 0x268
	s_wait_alu 0xfffe
	s_lshl_b64 s[6:7], s[6:7], 3
	s_delay_alu instid0(VALU_DEP_1) | instskip(SKIP_1) | instid1(VALU_DEP_1)
	v_mad_co_u64_u32 v[29:30], null, s5, v107, v[27:28]
	v_mov_b32_e32 v25, v28
	v_lshlrev_b64_e32 v[24:25], 3, v[24:25]
	s_wait_dscnt 0x3
	v_mul_f32_e32 v18, v89, v0
	s_wait_dscnt 0x2
	v_dual_mul_f32 v20, v93, v5 :: v_dual_mul_f32 v21, v87, v7
	s_delay_alu instid0(VALU_DEP_1) | instskip(SKIP_1) | instid1(VALU_DEP_3)
	v_dual_mov_b32 v27, v29 :: v_dual_fmac_f32 v20, v92, v4
	v_mul_f32_e32 v19, v91, v3
	v_fmac_f32_e32 v21, v86, v6
	s_delay_alu instid0(VALU_DEP_3) | instskip(NEXT) | instid1(VALU_DEP_3)
	v_lshlrev_b64_e32 v[26:27], 3, v[26:27]
	v_fmac_f32_e32 v19, v90, v2
	v_mul_f32_e32 v17, v89, v1
	v_fma_f32 v1, v88, v1, -v18
	v_mul_f32_e32 v18, v93, v4
	s_delay_alu instid0(VALU_DEP_3)
	v_dual_mul_f32 v4, v87, v6 :: v_dual_fmac_f32 v17, v88, v0
	v_mul_f32_e32 v0, v91, v2
	s_wait_dscnt 0x1
	v_sub_f32_e32 v2, v10, v19
	v_fma_f32 v18, v92, v5, -v18
	v_sub_f32_e32 v1, v9, v1
	v_fma_f32 v3, v90, v3, -v0
	s_delay_alu instid0(VALU_DEP_4)
	v_fma_f32 v6, v10, 2.0, -v2
	s_wait_dscnt 0x0
	v_sub_f32_e32 v10, v14, v21
	v_sub_f32_e32 v0, v8, v17
	v_fma_f32 v17, v86, v7, -v4
	v_sub_f32_e32 v3, v11, v3
	v_fma_f32 v5, v9, 2.0, -v1
	v_sub_f32_e32 v9, v13, v18
	v_fma_f32 v4, v8, 2.0, -v0
	;; [unrolled: 2-line block ×3, first 2 shown]
	v_sub_f32_e32 v11, v15, v17
	v_add_nc_u32_e32 v17, 0x2400, v106
	v_fma_f32 v13, v13, 2.0, -v9
	v_fma_f32 v12, v12, 2.0, -v8
	;; [unrolled: 1-line block ×4, first 2 shown]
	ds_store_b64 v106, v[0:1] offset:7392
	ds_store_2addr_b64 v106, v[4:5], v[6:7] offset1:231
	ds_store_2addr_b64 v17, v[2:3], v[8:9] offset0:3 offset1:234
	ds_store_2addr_b64 v16, v[12:13], v[14:15] offset0:14 offset1:245
	ds_store_b64 v106, v[10:11] offset:12936
	v_add_nc_u32_e32 v4, 0x1300, v106
	v_add_nc_u32_e32 v8, 0x2600, v106
	global_wb scope:SCOPE_SE
	s_wait_dscnt 0x0
	s_barrier_signal -1
	s_barrier_wait -1
	global_inv scope:SCOPE_SE
	ds_load_2addr_b64 v[0:3], v106 offset1:231
	ds_load_2addr_b64 v[4:7], v4 offset0:8 offset1:239
	ds_load_2addr_b64 v[8:11], v8 offset0:16 offset1:247
	s_wait_dscnt 0x2
	v_mul_f32_e32 v12, v83, v1
	s_wait_dscnt 0x0
	v_mul_f32_e32 v16, v77, v9
	v_mul_f32_e32 v18, v75, v3
	v_dual_mul_f32 v13, v83, v0 :: v_dual_mul_f32 v14, v81, v5
	v_fmac_f32_e32 v12, v82, v0
	s_delay_alu instid0(VALU_DEP_3) | instskip(SKIP_1) | instid1(VALU_DEP_4)
	v_dual_mul_f32 v15, v81, v4 :: v_dual_fmac_f32 v18, v74, v2
	v_mul_f32_e32 v2, v75, v2
	v_fma_f32 v13, v82, v1, -v13
	v_dual_mul_f32 v17, v77, v8 :: v_dual_mul_f32 v22, v79, v11
	v_dual_fmac_f32 v16, v76, v8 :: v_dual_mul_f32 v21, v73, v6
	v_cvt_f64_f32_e32 v[0:1], v12
	s_delay_alu instid0(VALU_DEP_4)
	v_cvt_f64_f32_e32 v[12:13], v13
	v_dual_mul_f32 v20, v73, v7 :: v_dual_mul_f32 v23, v79, v10
	v_fmac_f32_e32 v14, v80, v4
	v_fma_f32 v15, v80, v5, -v15
	v_fma_f32 v17, v76, v9, -v17
	;; [unrolled: 1-line block ×4, first 2 shown]
	v_fmac_f32_e32 v20, v72, v6
	v_fmac_f32_e32 v22, v78, v10
	v_fma_f32 v23, v78, v11, -v23
	v_cvt_f64_f32_e32 v[4:5], v14
	v_cvt_f64_f32_e32 v[8:9], v15
	;; [unrolled: 1-line block ×10, first 2 shown]
	v_mul_f64_e32 v[0:1], s[2:3], v[0:1]
	v_mul_f64_e32 v[12:13], s[2:3], v[12:13]
	;; [unrolled: 1-line block ×12, first 2 shown]
	v_cvt_f32_f64_e32 v0, v[0:1]
	v_cvt_f32_f64_e32 v1, v[12:13]
	;; [unrolled: 1-line block ×8, first 2 shown]
	v_add_co_u32 v10, s0, s8, v24
	v_cvt_f32_f64_e32 v12, v[18:19]
	v_cvt_f32_f64_e32 v2, v[6:7]
	s_wait_alu 0xf1ff
	v_add_co_ci_u32_e64 v11, s0, s9, v25, s0
	v_cvt_f32_f64_e32 v6, v[20:21]
	v_cvt_f32_f64_e32 v7, v[22:23]
	v_add_co_u32 v10, s0, v10, v26
	s_wait_alu 0xf1ff
	v_add_co_ci_u32_e64 v11, s0, v11, v27, s0
	s_movk_i32 s8, 0xfc17
	s_wait_alu 0xfffe
	v_add_co_u32 v14, s0, v10, s6
	s_wait_alu 0xf1ff
	v_add_co_ci_u32_e64 v15, s0, s7, v11, s0
	s_mov_b32 s9, -1
	s_delay_alu instid0(VALU_DEP_2)
	v_add_co_u32 v16, s0, v14, s6
	s_wait_alu 0xfffe
	s_mul_u64 s[4:5], s[4:5], s[8:9]
	v_add_co_ci_u32_e64 v17, s0, s7, v15, s0
	s_wait_alu 0xfffe
	s_lshl_b64 s[4:5], s[4:5], 3
	global_store_b64 v[10:11], v[0:1], off
	s_wait_alu 0xfffe
	v_add_co_u32 v18, s0, v16, s4
	s_wait_alu 0xf1ff
	v_add_co_ci_u32_e64 v19, s0, s5, v17, s0
	s_delay_alu instid0(VALU_DEP_2) | instskip(SKIP_1) | instid1(VALU_DEP_2)
	v_add_co_u32 v20, s0, v18, s6
	s_wait_alu 0xf1ff
	v_add_co_ci_u32_e64 v21, s0, s7, v19, s0
	s_delay_alu instid0(VALU_DEP_2) | instskip(SKIP_1) | instid1(VALU_DEP_2)
	v_add_co_u32 v0, s0, v20, s6
	s_wait_alu 0xf1ff
	v_add_co_ci_u32_e64 v1, s0, s7, v21, s0
	s_clause 0x3
	global_store_b64 v[14:15], v[4:5], off
	global_store_b64 v[16:17], v[8:9], off
	;; [unrolled: 1-line block ×5, first 2 shown]
	s_and_b32 exec_lo, exec_lo, vcc_lo
	s_cbranch_execz .LBB0_31
; %bb.30:
	s_clause 0x2
	global_load_b64 v[2:3], v[70:71], off offset:3696
	global_load_b64 v[4:5], v[70:71], off offset:8624
	;; [unrolled: 1-line block ×3, first 2 shown]
	ds_load_b64 v[8:9], v106 offset:3696
	ds_load_b64 v[10:11], v106 offset:8624
	;; [unrolled: 1-line block ×3, first 2 shown]
	v_add_co_u32 v0, vcc_lo, v0, s4
	s_wait_alu 0xfffd
	v_add_co_ci_u32_e32 v1, vcc_lo, s5, v1, vcc_lo
	s_wait_loadcnt_dscnt 0x101
	v_dual_mul_f32 v14, v9, v3 :: v_dual_mul_f32 v15, v11, v5
	v_mul_f32_e32 v3, v8, v3
	s_wait_loadcnt_dscnt 0x0
	v_dual_mul_f32 v5, v10, v5 :: v_dual_mul_f32 v16, v13, v7
	v_mul_f32_e32 v7, v12, v7
	v_dual_fmac_f32 v14, v8, v2 :: v_dual_fmac_f32 v15, v10, v4
	v_fma_f32 v8, v2, v9, -v3
	s_delay_alu instid0(VALU_DEP_4)
	v_fma_f32 v9, v4, v11, -v5
	v_fmac_f32_e32 v16, v12, v6
	v_fma_f32 v12, v6, v13, -v7
	v_cvt_f64_f32_e32 v[2:3], v14
	v_cvt_f64_f32_e32 v[4:5], v8
	;; [unrolled: 1-line block ×6, first 2 shown]
	v_mul_f64_e32 v[2:3], s[2:3], v[2:3]
	v_mul_f64_e32 v[4:5], s[2:3], v[4:5]
	;; [unrolled: 1-line block ×6, first 2 shown]
	v_cvt_f32_f64_e32 v2, v[2:3]
	v_cvt_f32_f64_e32 v3, v[4:5]
	;; [unrolled: 1-line block ×6, first 2 shown]
	v_add_co_u32 v8, vcc_lo, v0, s6
	s_wait_alu 0xfffd
	v_add_co_ci_u32_e32 v9, vcc_lo, s7, v1, vcc_lo
	s_delay_alu instid0(VALU_DEP_2) | instskip(SKIP_1) | instid1(VALU_DEP_2)
	v_add_co_u32 v10, vcc_lo, v8, s6
	s_wait_alu 0xfffd
	v_add_co_ci_u32_e32 v11, vcc_lo, s7, v9, vcc_lo
	global_store_b64 v[0:1], v[2:3], off
	global_store_b64 v[8:9], v[4:5], off
	global_store_b64 v[10:11], v[6:7], off
.LBB0_31:
	s_nop 0
	s_sendmsg sendmsg(MSG_DEALLOC_VGPRS)
	s_endpgm
	.section	.rodata,"a",@progbits
	.p2align	6, 0x0
	.amdhsa_kernel bluestein_single_fwd_len1848_dim1_sp_op_CI_CI
		.amdhsa_group_segment_fixed_size 14784
		.amdhsa_private_segment_fixed_size 0
		.amdhsa_kernarg_size 104
		.amdhsa_user_sgpr_count 2
		.amdhsa_user_sgpr_dispatch_ptr 0
		.amdhsa_user_sgpr_queue_ptr 0
		.amdhsa_user_sgpr_kernarg_segment_ptr 1
		.amdhsa_user_sgpr_dispatch_id 0
		.amdhsa_user_sgpr_private_segment_size 0
		.amdhsa_wavefront_size32 1
		.amdhsa_uses_dynamic_stack 0
		.amdhsa_enable_private_segment 0
		.amdhsa_system_sgpr_workgroup_id_x 1
		.amdhsa_system_sgpr_workgroup_id_y 0
		.amdhsa_system_sgpr_workgroup_id_z 0
		.amdhsa_system_sgpr_workgroup_info 0
		.amdhsa_system_vgpr_workitem_id 0
		.amdhsa_next_free_vgpr 199
		.amdhsa_next_free_sgpr 18
		.amdhsa_reserve_vcc 1
		.amdhsa_float_round_mode_32 0
		.amdhsa_float_round_mode_16_64 0
		.amdhsa_float_denorm_mode_32 3
		.amdhsa_float_denorm_mode_16_64 3
		.amdhsa_fp16_overflow 0
		.amdhsa_workgroup_processor_mode 1
		.amdhsa_memory_ordered 1
		.amdhsa_forward_progress 0
		.amdhsa_round_robin_scheduling 0
		.amdhsa_exception_fp_ieee_invalid_op 0
		.amdhsa_exception_fp_denorm_src 0
		.amdhsa_exception_fp_ieee_div_zero 0
		.amdhsa_exception_fp_ieee_overflow 0
		.amdhsa_exception_fp_ieee_underflow 0
		.amdhsa_exception_fp_ieee_inexact 0
		.amdhsa_exception_int_div_zero 0
	.end_amdhsa_kernel
	.text
.Lfunc_end0:
	.size	bluestein_single_fwd_len1848_dim1_sp_op_CI_CI, .Lfunc_end0-bluestein_single_fwd_len1848_dim1_sp_op_CI_CI
                                        ; -- End function
	.section	.AMDGPU.csdata,"",@progbits
; Kernel info:
; codeLenInByte = 13900
; NumSgprs: 20
; NumVgprs: 199
; ScratchSize: 0
; MemoryBound: 0
; FloatMode: 240
; IeeeMode: 1
; LDSByteSize: 14784 bytes/workgroup (compile time only)
; SGPRBlocks: 2
; VGPRBlocks: 24
; NumSGPRsForWavesPerEU: 20
; NumVGPRsForWavesPerEU: 199
; Occupancy: 7
; WaveLimiterHint : 1
; COMPUTE_PGM_RSRC2:SCRATCH_EN: 0
; COMPUTE_PGM_RSRC2:USER_SGPR: 2
; COMPUTE_PGM_RSRC2:TRAP_HANDLER: 0
; COMPUTE_PGM_RSRC2:TGID_X_EN: 1
; COMPUTE_PGM_RSRC2:TGID_Y_EN: 0
; COMPUTE_PGM_RSRC2:TGID_Z_EN: 0
; COMPUTE_PGM_RSRC2:TIDIG_COMP_CNT: 0
	.text
	.p2alignl 7, 3214868480
	.fill 96, 4, 3214868480
	.type	__hip_cuid_c988d619b3f08a08,@object ; @__hip_cuid_c988d619b3f08a08
	.section	.bss,"aw",@nobits
	.globl	__hip_cuid_c988d619b3f08a08
__hip_cuid_c988d619b3f08a08:
	.byte	0                               ; 0x0
	.size	__hip_cuid_c988d619b3f08a08, 1

	.ident	"AMD clang version 19.0.0git (https://github.com/RadeonOpenCompute/llvm-project roc-6.4.0 25133 c7fe45cf4b819c5991fe208aaa96edf142730f1d)"
	.section	".note.GNU-stack","",@progbits
	.addrsig
	.addrsig_sym __hip_cuid_c988d619b3f08a08
	.amdgpu_metadata
---
amdhsa.kernels:
  - .args:
      - .actual_access:  read_only
        .address_space:  global
        .offset:         0
        .size:           8
        .value_kind:     global_buffer
      - .actual_access:  read_only
        .address_space:  global
        .offset:         8
        .size:           8
        .value_kind:     global_buffer
      - .actual_access:  read_only
        .address_space:  global
        .offset:         16
        .size:           8
        .value_kind:     global_buffer
      - .actual_access:  read_only
        .address_space:  global
        .offset:         24
        .size:           8
        .value_kind:     global_buffer
      - .actual_access:  read_only
        .address_space:  global
        .offset:         32
        .size:           8
        .value_kind:     global_buffer
      - .offset:         40
        .size:           8
        .value_kind:     by_value
      - .address_space:  global
        .offset:         48
        .size:           8
        .value_kind:     global_buffer
      - .address_space:  global
        .offset:         56
        .size:           8
        .value_kind:     global_buffer
      - .address_space:  global
        .offset:         64
        .size:           8
        .value_kind:     global_buffer
      - .address_space:  global
        .offset:         72
        .size:           8
        .value_kind:     global_buffer
      - .offset:         80
        .size:           4
        .value_kind:     by_value
      - .address_space:  global
        .offset:         88
        .size:           8
        .value_kind:     global_buffer
      - .address_space:  global
        .offset:         96
        .size:           8
        .value_kind:     global_buffer
    .group_segment_fixed_size: 14784
    .kernarg_segment_align: 8
    .kernarg_segment_size: 104
    .language:       OpenCL C
    .language_version:
      - 2
      - 0
    .max_flat_workgroup_size: 231
    .name:           bluestein_single_fwd_len1848_dim1_sp_op_CI_CI
    .private_segment_fixed_size: 0
    .sgpr_count:     20
    .sgpr_spill_count: 0
    .symbol:         bluestein_single_fwd_len1848_dim1_sp_op_CI_CI.kd
    .uniform_work_group_size: 1
    .uses_dynamic_stack: false
    .vgpr_count:     199
    .vgpr_spill_count: 0
    .wavefront_size: 32
    .workgroup_processor_mode: 1
amdhsa.target:   amdgcn-amd-amdhsa--gfx1201
amdhsa.version:
  - 1
  - 2
...

	.end_amdgpu_metadata
